;; amdgpu-corpus repo=ROCm/rocFFT kind=compiled arch=gfx906 opt=O3
	.text
	.amdgcn_target "amdgcn-amd-amdhsa--gfx906"
	.amdhsa_code_object_version 6
	.protected	bluestein_single_fwd_len816_dim1_sp_op_CI_CI ; -- Begin function bluestein_single_fwd_len816_dim1_sp_op_CI_CI
	.globl	bluestein_single_fwd_len816_dim1_sp_op_CI_CI
	.p2align	8
	.type	bluestein_single_fwd_len816_dim1_sp_op_CI_CI,@function
bluestein_single_fwd_len816_dim1_sp_op_CI_CI: ; @bluestein_single_fwd_len816_dim1_sp_op_CI_CI
; %bb.0:
	s_mov_b64 s[26:27], s[2:3]
	s_mov_b64 s[24:25], s[0:1]
	s_load_dwordx4 s[0:3], s[4:5], 0x28
	v_mul_u32_u24_e32 v1, 0x506, v0
	v_add_u32_sdwa v205, s6, v1 dst_sel:DWORD dst_unused:UNUSED_PAD src0_sel:DWORD src1_sel:WORD_1
	v_mov_b32_e32 v206, 0
	s_add_u32 s24, s24, s7
	s_waitcnt lgkmcnt(0)
	v_cmp_gt_u64_e32 vcc, s[0:1], v[205:206]
	s_addc_u32 s25, s25, 0
	s_and_saveexec_b64 s[0:1], vcc
	s_cbranch_execz .LBB0_23
; %bb.1:
	s_load_dwordx2 s[12:13], s[4:5], 0x0
	s_load_dwordx2 s[14:15], s[4:5], 0x38
	v_mov_b32_e32 v2, 51
	v_mul_lo_u16_sdwa v1, v1, v2 dst_sel:DWORD dst_unused:UNUSED_PAD src0_sel:WORD_1 src1_sel:DWORD
	v_sub_u16_e32 v125, v0, v1
	v_cmp_gt_u16_e64 s[0:1], 48, v125
	v_lshlrev_b32_e32 v126, 3, v125
	s_and_saveexec_b64 s[6:7], s[0:1]
	s_cbranch_execz .LBB0_3
; %bb.2:
	s_load_dwordx2 s[8:9], s[4:5], 0x18
	v_or_b32_e32 v16, 0xc0, v125
	v_or_b32_e32 v57, 0x240, v125
	s_movk_i32 s18, 0x1000
	s_waitcnt lgkmcnt(0)
	s_load_dwordx4 s[8:11], s[8:9], 0x0
	s_waitcnt lgkmcnt(0)
	v_mad_u64_u32 v[0:1], s[16:17], s10, v205, 0
	v_mad_u64_u32 v[2:3], s[16:17], s8, v125, 0
	s_mul_i32 s17, s8, 0x300
	v_mad_u64_u32 v[4:5], s[10:11], s11, v205, v[1:2]
	v_mad_u64_u32 v[12:13], s[10:11], s8, v16, 0
	;; [unrolled: 1-line block ×3, first 2 shown]
	v_mov_b32_e32 v1, v4
	v_lshlrev_b64 v[0:1], 3, v[0:1]
	v_mov_b32_e32 v3, v5
	v_mov_b32_e32 v6, s3
	v_lshlrev_b64 v[2:3], 3, v[2:3]
	v_add_co_u32_e32 v74, vcc, s2, v0
	v_addc_co_u32_e32 v75, vcc, v6, v1, vcc
	v_add_co_u32_e32 v0, vcc, v74, v2
	v_addc_co_u32_e32 v1, vcc, v75, v3, vcc
	v_mov_b32_e32 v2, s13
	v_add_co_u32_e32 v53, vcc, s12, v126
	s_mul_i32 s2, s9, 0x180
	s_mul_hi_u32 s3, s8, 0x180
	v_addc_co_u32_e32 v54, vcc, 0, v2, vcc
	s_add_i32 s3, s3, s2
	s_mul_i32 s2, s8, 0x180
	v_mov_b32_e32 v3, s3
	v_add_co_u32_e32 v2, vcc, s2, v0
	v_addc_co_u32_e32 v3, vcc, v1, v3, vcc
	v_mov_b32_e32 v5, s3
	v_add_co_u32_e32 v4, vcc, s2, v2
	v_addc_co_u32_e32 v5, vcc, v3, v5, vcc
	v_add_co_u32_e32 v14, vcc, s2, v4
	v_mov_b32_e32 v15, s3
	v_mad_u64_u32 v[16:17], s[10:11], s9, v16, v[13:14]
	global_load_dwordx2 v[6:7], v126, s[12:13]
	global_load_dwordx2 v[8:9], v126, s[12:13] offset:384
	global_load_dwordx2 v[10:11], v126, s[12:13] offset:768
	v_addc_co_u32_e32 v15, vcc, v5, v15, vcc
	global_load_dwordx2 v[17:18], v[0:1], off
	global_load_dwordx2 v[19:20], v[2:3], off
	;; [unrolled: 1-line block ×4, first 2 shown]
	v_mov_b32_e32 v13, v16
	v_lshlrev_b64 v[0:1], 3, v[12:13]
	s_mul_i32 s10, s9, 0x300
	v_add_co_u32_e32 v0, vcc, v74, v0
	s_mul_hi_u32 s11, s8, 0x300
	v_addc_co_u32_e32 v1, vcc, v75, v1, vcc
	s_add_i32 s16, s11, s10
	v_mov_b32_e32 v3, s16
	v_add_co_u32_e32 v2, vcc, s17, v14
	v_or_b32_e32 v16, 0x180, v125
	v_addc_co_u32_e32 v3, vcc, v15, v3, vcc
	v_mad_u64_u32 v[14:15], s[10:11], s8, v16, 0
	global_load_dwordx2 v[4:5], v[0:1], off
	global_load_dwordx2 v[12:13], v[2:3], off
	v_mov_b32_e32 v1, s3
	v_mad_u64_u32 v[15:16], s[10:11], s9, v16, v[15:16]
	v_add_co_u32_e32 v0, vcc, s2, v2
	v_addc_co_u32_e32 v1, vcc, v3, v1, vcc
	global_load_dwordx2 v[2:3], v[0:1], off
	v_mov_b32_e32 v33, s3
	v_add_co_u32_e32 v0, vcc, s2, v0
	v_lshlrev_b64 v[14:15], 3, v[14:15]
	v_addc_co_u32_e32 v1, vcc, v1, v33, vcc
	v_add_co_u32_e32 v14, vcc, v74, v14
	v_addc_co_u32_e32 v15, vcc, v75, v15, vcc
	global_load_dwordx2 v[25:26], v126, s[12:13] offset:1152
	global_load_dwordx2 v[27:28], v126, s[12:13] offset:1536
	;; [unrolled: 1-line block ×4, first 2 shown]
	global_load_dwordx2 v[33:34], v[0:1], off
	v_mov_b32_e32 v16, s16
	v_add_co_u32_e32 v0, vcc, s17, v0
	v_addc_co_u32_e32 v1, vcc, v1, v16, vcc
	v_mad_u64_u32 v[47:48], s[10:11], s8, v57, 0
	global_load_dwordx2 v[35:36], v[0:1], off
	v_mov_b32_e32 v16, s3
	v_add_co_u32_e32 v0, vcc, s2, v0
	v_addc_co_u32_e32 v1, vcc, v1, v16, vcc
	global_load_dwordx2 v[14:15], v[14:15], off
	s_nop 0
	global_load_dwordx2 v[37:38], v[0:1], off
	global_load_dwordx2 v[39:40], v126, s[12:13] offset:2688
	global_load_dwordx2 v[41:42], v126, s[12:13] offset:3072
	;; [unrolled: 1-line block ×4, first 2 shown]
	v_add_co_u32_e32 v0, vcc, s2, v0
	v_addc_co_u32_e32 v1, vcc, v1, v16, vcc
	v_mov_b32_e32 v16, v48
	global_load_dwordx2 v[49:50], v[0:1], off
	s_waitcnt vmcnt(19)
	v_mad_u64_u32 v[51:52], s[10:11], s9, v57, v[16:17]
	v_add_co_u32_e32 v52, vcc, s18, v53
	v_mov_b32_e32 v48, v51
	v_lshlrev_b64 v[47:48], 3, v[47:48]
	v_addc_co_u32_e32 v53, vcc, 0, v54, vcc
	v_add_co_u32_e32 v47, vcc, v74, v47
	v_addc_co_u32_e32 v48, vcc, v75, v48, vcc
	v_lshlrev_b32_e32 v16, 3, v57
	global_load_dwordx2 v[57:58], v16, s[12:13]
	v_mov_b32_e32 v16, s16
	v_add_co_u32_e32 v0, vcc, s17, v0
	v_or_b32_e32 v51, 0x300, v125
	v_addc_co_u32_e32 v1, vcc, v1, v16, vcc
	v_mad_u64_u32 v[63:64], s[10:11], s8, v51, 0
	global_load_dwordx2 v[59:60], v[0:1], off
	v_mov_b32_e32 v16, s3
	v_add_co_u32_e32 v0, vcc, s2, v0
	v_addc_co_u32_e32 v1, vcc, v1, v16, vcc
	global_load_dwordx2 v[61:62], v[0:1], off
	v_add_co_u32_e32 v0, vcc, s2, v0
	v_addc_co_u32_e32 v1, vcc, v1, v16, vcc
	v_mov_b32_e32 v16, v64
	v_mad_u64_u32 v[67:68], s[2:3], s9, v51, v[16:17]
	global_load_dwordx2 v[54:55], v[52:53], off offset:128
	global_load_dwordx2 v[65:66], v[52:53], off offset:896
	v_mov_b32_e32 v64, v67
	global_load_dwordx2 v[47:48], v[47:48], off
	s_nop 0
	global_load_dwordx2 v[68:69], v[0:1], off
	global_load_dwordx2 v[70:71], v[52:53], off offset:1280
	global_load_dwordx2 v[72:73], v[52:53], off offset:1664
	v_lshlrev_b64 v[0:1], 3, v[63:64]
	v_lshlrev_b32_e32 v16, 3, v51
	v_add_co_u32_e32 v0, vcc, v74, v0
	v_addc_co_u32_e32 v1, vcc, v75, v1, vcc
	global_load_dwordx2 v[0:1], v[0:1], off
	s_nop 0
	global_load_dwordx2 v[51:52], v16, s[12:13]
	v_mul_f32_e32 v16, v18, v7
	v_mul_f32_e32 v7, v17, v7
	v_fmac_f32_e32 v16, v17, v6
	v_fma_f32 v17, v18, v6, -v7
	s_waitcnt vmcnt(29)
	v_mul_f32_e32 v6, v20, v9
	v_mul_f32_e32 v7, v19, v9
	v_fmac_f32_e32 v6, v19, v8
	v_fma_f32 v7, v20, v8, -v7
	ds_write2_b64 v126, v[16:17], v[6:7] offset1:48
	s_waitcnt vmcnt(28)
	v_mul_f32_e32 v6, v22, v11
	v_mul_f32_e32 v7, v21, v11
	s_waitcnt vmcnt(23)
	v_mul_f32_e32 v8, v24, v26
	v_mul_f32_e32 v9, v23, v26
	v_fmac_f32_e32 v6, v21, v10
	v_fma_f32 v7, v22, v10, -v7
	v_fmac_f32_e32 v8, v23, v25
	v_fma_f32 v9, v24, v25, -v9
	ds_write2_b64 v126, v[6:7], v[8:9] offset0:96 offset1:144
	s_waitcnt vmcnt(22)
	v_mul_f32_e32 v6, v5, v28
	v_fmac_f32_e32 v6, v4, v27
	v_mul_f32_e32 v4, v4, v28
	v_fma_f32 v7, v5, v27, -v4
	s_waitcnt vmcnt(21)
	v_mul_f32_e32 v4, v13, v30
	v_mul_f32_e32 v5, v12, v30
	v_fmac_f32_e32 v4, v12, v29
	v_fma_f32 v5, v13, v29, -v5
	ds_write2_b64 v126, v[6:7], v[4:5] offset0:192 offset1:240
	s_waitcnt vmcnt(20)
	v_mul_f32_e32 v4, v3, v32
	v_fmac_f32_e32 v4, v2, v31
	v_mul_f32_e32 v2, v2, v32
	v_fma_f32 v5, v3, v31, -v2
	s_waitcnt vmcnt(15)
	v_mul_f32_e32 v2, v34, v40
	v_mul_f32_e32 v3, v33, v40
	v_fmac_f32_e32 v2, v33, v39
	v_fma_f32 v3, v34, v39, -v3
	v_add_u32_e32 v6, 0x800, v126
	ds_write2_b64 v6, v[4:5], v[2:3] offset0:32 offset1:80
	s_waitcnt vmcnt(14)
	v_mul_f32_e32 v2, v15, v42
	v_mul_f32_e32 v3, v14, v42
	s_waitcnt vmcnt(13)
	v_mul_f32_e32 v4, v36, v44
	v_mul_f32_e32 v5, v35, v44
	v_fmac_f32_e32 v2, v14, v41
	v_fma_f32 v3, v15, v41, -v3
	v_fmac_f32_e32 v4, v35, v43
	v_fma_f32 v5, v36, v43, -v5
	ds_write2_b64 v6, v[2:3], v[4:5] offset0:128 offset1:176
	s_waitcnt vmcnt(12)
	v_mul_f32_e32 v2, v38, v46
	v_mul_f32_e32 v3, v37, v46
	v_fmac_f32_e32 v2, v37, v45
	v_fma_f32 v3, v38, v45, -v3
	v_add_u32_e32 v6, 0xc00, v126
	s_waitcnt vmcnt(7)
	v_mul_f32_e32 v4, v50, v55
	v_mul_f32_e32 v5, v49, v55
	v_fmac_f32_e32 v4, v49, v54
	v_fma_f32 v5, v50, v54, -v5
	ds_write2_b64 v6, v[2:3], v[4:5] offset0:96 offset1:144
	s_waitcnt vmcnt(5)
	v_mul_f32_e32 v2, v48, v58
	v_mul_f32_e32 v3, v47, v58
	;; [unrolled: 1-line block ×4, first 2 shown]
	v_fmac_f32_e32 v2, v47, v57
	v_fma_f32 v3, v48, v57, -v3
	v_fmac_f32_e32 v4, v59, v65
	v_fma_f32 v5, v60, v65, -v5
	v_add_u32_e32 v6, 0x1000, v126
	ds_write2_b64 v6, v[2:3], v[4:5] offset0:64 offset1:112
	s_waitcnt vmcnt(3)
	v_mul_f32_e32 v2, v62, v71
	v_mul_f32_e32 v3, v61, v71
	s_waitcnt vmcnt(2)
	v_mul_f32_e32 v4, v69, v73
	v_mul_f32_e32 v5, v68, v73
	v_fmac_f32_e32 v2, v61, v70
	v_fma_f32 v3, v62, v70, -v3
	v_fmac_f32_e32 v4, v68, v72
	v_fma_f32 v5, v69, v72, -v5
	ds_write2_b64 v6, v[2:3], v[4:5] offset0:160 offset1:208
	s_waitcnt vmcnt(0)
	v_mul_f32_e32 v2, v1, v52
	v_fmac_f32_e32 v2, v0, v51
	v_mul_f32_e32 v0, v0, v52
	v_fma_f32 v3, v1, v51, -v0
	ds_write_b64 v126, v[2:3] offset:6144
.LBB0_3:
	s_or_b64 exec, exec, s[6:7]
	s_load_dwordx2 s[2:3], s[4:5], 0x20
	s_load_dwordx2 s[8:9], s[4:5], 0x8
	v_mov_b32_e32 v0, 0
	v_mov_b32_e32 v1, 0
	s_waitcnt lgkmcnt(0)
	; wave barrier
	s_waitcnt lgkmcnt(0)
                                        ; implicit-def: $vgpr18
                                        ; implicit-def: $vgpr14
                                        ; implicit-def: $vgpr10
                                        ; implicit-def: $vgpr6
                                        ; implicit-def: $vgpr32
                                        ; implicit-def: $vgpr22
                                        ; implicit-def: $vgpr26
                                        ; implicit-def: $vgpr30
	s_and_saveexec_b64 s[4:5], s[0:1]
	s_cbranch_execz .LBB0_5
; %bb.4:
	v_add_u32_e32 v4, 0x800, v126
	ds_read2_b64 v[0:3], v126 offset1:48
	ds_read2_b64 v[28:31], v126 offset0:96 offset1:144
	ds_read2_b64 v[24:27], v126 offset0:192 offset1:240
	;; [unrolled: 1-line block ×4, first 2 shown]
	v_add_u32_e32 v4, 0xc00, v126
	ds_read2_b64 v[12:15], v4 offset0:96 offset1:144
	v_add_u32_e32 v4, 0x1000, v126
	ds_read2_b64 v[8:11], v4 offset0:64 offset1:112
	ds_read2_b64 v[4:7], v4 offset0:160 offset1:208
	ds_read_b64 v[32:33], v126 offset:6144
.LBB0_5:
	s_or_b64 exec, exec, s[4:5]
	s_waitcnt lgkmcnt(0)
	v_sub_f32_e32 v64, v3, v33
	v_mul_f32_e32 v54, 0xbeb8f4ab, v64
	v_sub_f32_e32 v67, v29, v7
	v_add_f32_e32 v36, v32, v2
	v_sub_f32_e32 v72, v2, v32
	v_mov_b32_e32 v34, v54
	v_mul_f32_e32 v55, 0xbf2c7751, v67
	v_add_f32_e32 v38, v33, v3
	s_mov_b32 s6, 0x3f6eb680
	v_mul_f32_e32 v58, 0xbeb8f4ab, v72
	v_fmac_f32_e32 v34, 0x3f6eb680, v36
	v_add_f32_e32 v37, v6, v28
	v_sub_f32_e32 v75, v28, v6
	v_mov_b32_e32 v39, v55
	v_add_f32_e32 v34, v34, v0
	v_fma_f32 v35, v38, s6, -v58
	v_add_f32_e32 v41, v7, v29
	s_mov_b32 s7, 0x3f3d2fb0
	v_mul_f32_e32 v60, 0xbf2c7751, v75
	v_fmac_f32_e32 v39, 0x3f3d2fb0, v37
	v_sub_f32_e32 v70, v31, v5
	v_add_f32_e32 v35, v35, v1
	v_add_f32_e32 v34, v39, v34
	v_fma_f32 v39, v41, s7, -v60
	v_mul_f32_e32 v57, 0xbf65296c, v70
	v_add_f32_e32 v35, v39, v35
	v_add_f32_e32 v39, v4, v30
	v_sub_f32_e32 v77, v30, v4
	v_mov_b32_e32 v40, v57
	v_add_f32_e32 v43, v5, v31
	s_mov_b32 s10, 0x3ee437d1
	v_mul_f32_e32 v62, 0xbf65296c, v77
	v_fmac_f32_e32 v40, 0x3ee437d1, v39
	v_sub_f32_e32 v73, v25, v11
	v_add_f32_e32 v34, v40, v34
	v_fma_f32 v40, v43, s10, -v62
	v_mul_f32_e32 v59, 0xbf7ee86f, v73
	v_add_f32_e32 v35, v40, v35
	v_add_f32_e32 v40, v10, v24
	v_sub_f32_e32 v80, v24, v10
	v_mov_b32_e32 v42, v59
	v_add_f32_e32 v45, v11, v25
	s_mov_b32 s11, 0x3dbcf732
	v_mul_f32_e32 v65, 0xbf7ee86f, v80
	v_fmac_f32_e32 v42, 0x3dbcf732, v40
	v_sub_f32_e32 v76, v27, v9
	;; [unrolled: 12-line block ×5, first 2 shown]
	v_add_f32_e32 v34, v48, v34
	v_fma_f32 v48, v50, s18, -v74
	v_mul_f32_e32 v69, 0xbe3c28d5, v83
	v_add_f32_e32 v35, v48, v35
	v_add_f32_e32 v48, v18, v16
	v_mov_b32_e32 v51, v69
	v_fmac_f32_e32 v51, 0xbf7ba420, v48
	v_sub_f32_e32 v85, v16, v18
	s_mov_b32 s19, 0xbf7ba420
	v_add_f32_e32 v52, v51, v34
	v_add_f32_e32 v51, v19, v17
	v_mul_f32_e32 v78, 0xbe3c28d5, v85
	v_fma_f32 v34, v51, s19, -v78
	v_add_f32_e32 v53, v34, v35
	s_waitcnt lgkmcnt(0)
	; wave barrier
	s_and_saveexec_b64 s[4:5], s[0:1]
	s_cbranch_execz .LBB0_7
; %bb.6:
	v_mul_f32_e32 v87, 0x3ee437d1, v38
	v_mov_b32_e32 v34, v87
	v_mul_f32_e32 v89, 0xbf1a4643, v41
	v_fmac_f32_e32 v34, 0x3f65296c, v72
	v_mov_b32_e32 v35, v89
	v_add_f32_e32 v34, v34, v1
	v_fmac_f32_e32 v35, 0x3f4c4adb, v75
	v_mul_f32_e32 v90, 0xbf7ba420, v43
	v_add_f32_e32 v34, v35, v34
	v_mov_b32_e32 v35, v90
	v_fmac_f32_e32 v35, 0xbe3c28d5, v77
	v_mul_f32_e32 v91, 0xbe8c1d8e, v45
	v_add_f32_e32 v34, v35, v34
	v_mov_b32_e32 v35, v91
	;; [unrolled: 4-line block ×7, first 2 shown]
	v_mul_f32_e32 v96, 0xbf4c4adb, v67
	v_fmac_f32_e32 v34, 0x3ee437d1, v36
	v_mov_b32_e32 v97, v96
	v_add_f32_e32 v34, v34, v0
	v_fmac_f32_e32 v97, 0xbf1a4643, v37
	v_add_f32_e32 v34, v97, v34
	v_mul_f32_e32 v97, 0x3e3c28d5, v70
	v_mov_b32_e32 v98, v97
	v_fmac_f32_e32 v98, 0xbf7ba420, v39
	v_add_f32_e32 v34, v98, v34
	v_mul_f32_e32 v98, 0x3f763a35, v73
	v_mov_b32_e32 v99, v98
	;; [unrolled: 4-line block ×7, first 2 shown]
	v_mul_f32_e32 v105, 0xbf59a7d5, v41
	v_fmac_f32_e32 v104, 0x3f763a35, v72
	v_mov_b32_e32 v106, v105
	v_add_f32_e32 v104, v104, v1
	v_fmac_f32_e32 v106, 0xbf06c442, v75
	v_add_f32_e32 v104, v106, v104
	v_mul_f32_e32 v106, 0x3f3d2fb0, v43
	v_mov_b32_e32 v107, v106
	v_fmac_f32_e32 v107, 0xbf2c7751, v77
	v_add_f32_e32 v104, v107, v104
	v_mul_f32_e32 v107, 0x3ee437d1, v45
	v_mov_b32_e32 v108, v107
	;; [unrolled: 4-line block ×6, first 2 shown]
	v_fmac_f32_e32 v112, 0xbe8c1d8e, v36
	v_add_f32_e32 v114, v112, v0
	v_mul_f32_e32 v112, 0x3f06c442, v67
	v_add_f32_e32 v3, v3, v1
	v_add_f32_e32 v2, v2, v0
	v_mov_b32_e32 v115, v112
	v_add_f32_e32 v3, v29, v3
	v_add_f32_e32 v2, v28, v2
	v_mul_f32_e32 v28, 0x3f2c7751, v70
	v_fmac_f32_e32 v115, 0xbf59a7d5, v37
	v_add_f32_e32 v31, v31, v3
	v_mov_b32_e32 v3, v28
	v_mul_f32_e32 v29, 0xbf65296c, v73
	v_add_f32_e32 v114, v115, v114
	v_add_f32_e32 v2, v30, v2
	v_fmac_f32_e32 v3, 0x3f3d2fb0, v39
	v_mov_b32_e32 v30, v29
	v_add_f32_e32 v3, v3, v114
	v_fmac_f32_e32 v30, 0x3ee437d1, v40
	v_add_f32_e32 v3, v30, v3
	v_mul_f32_e32 v30, 0xbe3c28d5, v76
	v_mov_b32_e32 v114, v30
	v_mul_f32_e32 v104, 0xbf1a4643, v51
	v_fmac_f32_e32 v114, 0xbf7ba420, v42
	v_add_f32_e32 v114, v114, v3
	v_mov_b32_e32 v3, v104
	v_fmac_f32_e32 v3, 0x3f4c4adb, v85
	v_add_f32_e32 v25, v25, v31
	v_add_f32_e32 v2, v24, v2
	v_mul_f32_e32 v24, 0x3f7ee86f, v79
	v_add_f32_e32 v3, v3, v113
	v_add_f32_e32 v31, v27, v25
	;; [unrolled: 1-line block ×3, first 2 shown]
	v_mov_b32_e32 v2, v24
	v_mul_f32_e32 v25, 0xbeb8f4ab, v81
	v_fmac_f32_e32 v2, 0x3dbcf732, v44
	v_mov_b32_e32 v26, v25
	v_add_f32_e32 v2, v2, v114
	v_fmac_f32_e32 v26, 0x3f6eb680, v46
	v_add_f32_e32 v2, v26, v2
	v_mul_f32_e32 v26, 0xbf4c4adb, v83
	v_mov_b32_e32 v27, v26
	v_fmac_f32_e32 v27, 0xbf1a4643, v48
	v_add_f32_e32 v2, v27, v2
	v_mul_f32_e32 v27, 0xbf59a7d5, v38
	v_add_f32_e32 v20, v20, v113
	v_mov_b32_e32 v114, v27
	v_add_f32_e32 v21, v21, v31
	v_add_f32_e32 v113, v22, v20
	v_mul_f32_e32 v20, 0x3ee437d1, v41
	v_fmac_f32_e32 v114, 0x3f06c442, v72
	v_add_f32_e32 v31, v23, v21
	v_mov_b32_e32 v21, v20
	v_add_f32_e32 v114, v114, v1
	v_fmac_f32_e32 v21, 0xbf65296c, v75
	v_add_f32_e32 v22, v21, v114
	v_mul_f32_e32 v21, 0x3dbcf732, v43
	v_mov_b32_e32 v23, v21
	v_fmac_f32_e32 v23, 0x3f7ee86f, v77
	v_add_f32_e32 v23, v23, v22
	v_mul_f32_e32 v22, 0xbf1a4643, v45
	v_mov_b32_e32 v114, v22
	v_fmac_f32_e32 v114, 0xbf4c4adb, v80
	v_add_f32_e32 v114, v114, v23
	v_mul_f32_e32 v23, 0x3f6eb680, v47
	v_add_f32_e32 v16, v16, v113
	v_mov_b32_e32 v115, v23
	v_add_f32_e32 v17, v17, v31
	v_add_f32_e32 v18, v18, v16
	v_mul_f32_e32 v16, 0xbf7ba420, v49
	v_fmac_f32_e32 v115, 0x3eb8f4ab, v82
	v_add_f32_e32 v17, v19, v17
	v_mov_b32_e32 v19, v16
	v_mul_f32_e32 v31, 0x3f3d2fb0, v50
	v_add_f32_e32 v114, v115, v114
	v_fmac_f32_e32 v19, 0x3e3c28d5, v84
	v_mov_b32_e32 v113, v31
	v_add_f32_e32 v19, v19, v114
	v_fmac_f32_e32 v113, 0xbf2c7751, v86
	v_add_f32_e32 v19, v113, v19
	v_mul_f32_e32 v113, 0xbf06c442, v64
	v_add_f32_e32 v12, v12, v18
	v_mov_b32_e32 v114, v113
	v_add_f32_e32 v13, v13, v17
	v_add_f32_e32 v12, v14, v12
	v_mul_f32_e32 v14, 0x3f65296c, v67
	v_fmac_f32_e32 v114, 0xbf59a7d5, v36
	v_add_f32_e32 v13, v15, v13
	v_mov_b32_e32 v15, v14
	v_mul_f32_e32 v17, 0xbf7ee86f, v70
	v_add_f32_e32 v114, v114, v0
	v_fmac_f32_e32 v15, 0x3ee437d1, v37
	v_mov_b32_e32 v18, v17
	v_add_f32_e32 v15, v15, v114
	v_fmac_f32_e32 v18, 0x3dbcf732, v39
	v_add_f32_e32 v15, v18, v15
	v_mul_f32_e32 v18, 0x3f4c4adb, v73
	v_mov_b32_e32 v114, v18
	v_add_f32_e32 v8, v8, v12
	v_mul_f32_e32 v12, 0xbeb8f4ab, v76
	v_fmac_f32_e32 v114, 0xbf1a4643, v40
	v_add_f32_e32 v9, v9, v13
	v_add_f32_e32 v116, v10, v8
	v_mov_b32_e32 v8, v12
	v_mul_f32_e32 v13, 0xbe3c28d5, v79
	v_add_f32_e32 v15, v114, v15
	v_add_f32_e32 v115, v11, v9
	v_fmac_f32_e32 v8, 0x3f6eb680, v42
	v_mov_b32_e32 v9, v13
	v_add_f32_e32 v8, v8, v15
	v_fmac_f32_e32 v9, 0xbf7ba420, v44
	v_mul_f32_e32 v15, 0x3f2c7751, v81
	v_add_f32_e32 v8, v9, v8
	v_mov_b32_e32 v9, v15
	v_mul_f32_e32 v114, 0xbe8c1d8e, v51
	v_fmac_f32_e32 v9, 0x3f3d2fb0, v46
	v_add_f32_e32 v8, v9, v8
	v_mov_b32_e32 v9, v114
	v_fmac_f32_e32 v9, 0x3f763a35, v85
	v_add_f32_e32 v9, v9, v19
	v_mul_f32_e32 v19, 0xbf763a35, v83
	v_mov_b32_e32 v10, v19
	v_fmac_f32_e32 v10, 0xbe8c1d8e, v48
	v_mul_f32_e32 v117, 0xbe3c28d5, v72
	v_add_f32_e32 v8, v10, v8
	v_mov_b32_e32 v10, v117
	v_mul_f32_e32 v118, 0x3eb8f4ab, v75
	v_fmac_f32_e32 v10, 0xbf7ba420, v38
	v_mov_b32_e32 v11, v118
	v_add_f32_e32 v10, v10, v1
	v_fmac_f32_e32 v11, 0x3f6eb680, v41
	v_mul_f32_e32 v119, 0xbf06c442, v77
	v_add_f32_e32 v10, v11, v10
	v_mov_b32_e32 v11, v119
	v_fmac_f32_e32 v11, 0xbf59a7d5, v43
	v_mul_f32_e32 v120, 0x3f2c7751, v80
	v_add_f32_e32 v10, v11, v10
	v_mov_b32_e32 v11, v120
	;; [unrolled: 4-line block ×3, first 2 shown]
	v_fmac_f32_e32 v11, 0xbf1a4643, v47
	v_mul_f32_e32 v122, 0x3f65296c, v84
	v_fmac_f32_e32 v27, 0xbf06c442, v72
	v_add_f32_e32 v10, v11, v10
	v_mov_b32_e32 v11, v122
	v_add_f32_e32 v27, v27, v1
	v_fmac_f32_e32 v20, 0x3f65296c, v75
	v_fmac_f32_e32 v11, 0x3ee437d1, v49
	v_mul_f32_e32 v123, 0xbf763a35, v86
	v_add_f32_e32 v20, v20, v27
	v_fmac_f32_e32 v21, 0xbf7ee86f, v77
	v_add_f32_e32 v10, v11, v10
	v_mov_b32_e32 v11, v123
	v_add_f32_e32 v20, v21, v20
	v_fmac_f32_e32 v22, 0x3f4c4adb, v80
	v_fmac_f32_e32 v11, 0xbe8c1d8e, v50
	v_mul_f32_e32 v124, 0xbe3c28d5, v64
	v_add_f32_e32 v20, v22, v20
	v_fmac_f32_e32 v23, 0xbeb8f4ab, v82
	v_add_f32_e32 v10, v11, v10
	v_fma_f32 v11, v36, s19, -v124
	v_mul_f32_e32 v127, 0x3eb8f4ab, v67
	v_add_f32_e32 v20, v23, v20
	v_fmac_f32_e32 v16, 0xbe3c28d5, v84
	v_add_f32_e32 v11, v11, v0
	v_fma_f32 v128, v37, s6, -v127
	v_add_f32_e32 v16, v16, v20
	v_fma_f32 v20, v36, s18, -v113
	v_add_f32_e32 v11, v128, v11
	v_mul_f32_e32 v128, 0xbf06c442, v70
	v_add_f32_e32 v20, v20, v0
	v_fma_f32 v14, v37, s10, -v14
	v_fma_f32 v129, v39, s18, -v128
	v_add_f32_e32 v14, v14, v20
	v_fma_f32 v17, v39, s11, -v17
	v_add_f32_e32 v11, v129, v11
	v_mul_f32_e32 v129, 0x3f2c7751, v73
	v_add_f32_e32 v14, v17, v14
	v_fma_f32 v17, v40, s17, -v18
	;; [unrolled: 7-line block ×3, first 2 shown]
	v_fma_f32 v131, v42, s17, -v130
	v_add_f32_e32 v12, v13, v12
	v_fma_f32 v13, v46, s7, -v15
	v_add_f32_e32 v11, v131, v11
	v_mul_f32_e32 v131, 0x3f65296c, v79
	v_fmac_f32_e32 v31, 0x3f2c7751, v86
	v_add_f32_e32 v12, v13, v12
	v_fma_f32 v14, v48, s16, -v19
	v_mul_f32_e32 v27, 0xbf4c4adb, v72
	v_fma_f32 v132, v44, s10, -v131
	v_add_f32_e32 v16, v31, v16
	v_add_f32_e32 v12, v14, v12
	v_mov_b32_e32 v14, v27
	v_mul_f32_e32 v31, 0x3f763a35, v75
	v_add_f32_e32 v11, v132, v11
	v_mul_f32_e32 v132, 0xbf763a35, v81
	v_fmac_f32_e32 v14, 0xbf1a4643, v38
	v_mov_b32_e32 v15, v31
	v_fma_f32 v133, v46, s16, -v132
	v_mul_f32_e32 v134, 0x3f7ee86f, v85
	v_add_f32_e32 v14, v14, v1
	v_fmac_f32_e32 v15, 0xbe8c1d8e, v41
	v_mul_f32_e32 v113, 0xbeb8f4ab, v77
	v_add_f32_e32 v133, v133, v11
	v_mov_b32_e32 v11, v134
	v_fmac_f32_e32 v114, 0xbf763a35, v85
	v_add_f32_e32 v14, v15, v14
	v_mov_b32_e32 v15, v113
	v_fmac_f32_e32 v11, 0x3dbcf732, v51
	v_mul_f32_e32 v135, 0x3f7ee86f, v83
	v_add_f32_e32 v13, v114, v16
	v_fmac_f32_e32 v15, 0x3f6eb680, v43
	v_mul_f32_e32 v114, 0xbf06c442, v80
	v_add_f32_e32 v11, v11, v10
	v_fma_f32 v10, v48, s11, -v135
	v_add_f32_e32 v14, v15, v14
	v_mov_b32_e32 v15, v114
	v_add_f32_e32 v10, v10, v133
	v_fmac_f32_e32 v15, 0xbf59a7d5, v45
	v_mul_f32_e32 v133, 0x3f7ee86f, v82
	v_add_f32_e32 v14, v15, v14
	v_mov_b32_e32 v15, v133
	v_fmac_f32_e32 v15, 0x3dbcf732, v47
	v_mul_f32_e32 v136, 0xbf2c7751, v84
	v_add_f32_e32 v14, v15, v14
	v_mov_b32_e32 v15, v136
	;; [unrolled: 4-line block ×3, first 2 shown]
	v_fmac_f32_e32 v15, 0xbf7ba420, v50
	v_mul_f32_e32 v138, 0xbf4c4adb, v64
	v_add_f32_e32 v14, v15, v14
	v_fma_f32 v15, v36, s17, -v138
	v_mul_f32_e32 v139, 0x3f763a35, v67
	v_add_f32_e32 v15, v15, v0
	v_fma_f32 v16, v37, s16, -v139
	;; [unrolled: 3-line block ×7, first 2 shown]
	v_mul_f32_e32 v145, 0x3f65296c, v85
	v_add_f32_e32 v16, v16, v15
	v_mov_b32_e32 v15, v145
	v_fmac_f32_e32 v15, 0x3ee437d1, v51
	v_mul_f32_e32 v146, 0x3f65296c, v83
	v_add_f32_e32 v15, v15, v14
	v_fma_f32 v14, v48, s10, -v146
	v_fmac_f32_e32 v103, 0xbf763a35, v72
	v_add_f32_e32 v14, v14, v16
	v_add_f32_e32 v16, v103, v1
	v_fmac_f32_e32 v105, 0x3f06c442, v75
	v_fma_f32 v17, v36, s16, -v111
	v_add_f32_e32 v16, v105, v16
	v_fmac_f32_e32 v106, 0x3f2c7751, v77
	v_add_f32_e32 v17, v17, v0
	v_fma_f32 v18, v37, s18, -v112
	v_add_f32_e32 v16, v106, v16
	v_fmac_f32_e32 v107, 0xbf65296c, v80
	v_add_f32_e32 v17, v18, v17
	;; [unrolled: 4-line block ×5, first 2 shown]
	v_fma_f32 v18, v44, s11, -v24
	v_add_f32_e32 v16, v110, v16
	v_add_f32_e32 v17, v18, v17
	v_fma_f32 v18, v46, s6, -v25
	v_fmac_f32_e32 v104, 0xbf4c4adb, v85
	v_add_f32_e32 v18, v18, v17
	v_add_f32_e32 v17, v104, v16
	v_fma_f32 v16, v48, s17, -v26
	v_mul_f32_e32 v28, 0xbf7ee86f, v72
	v_add_f32_e32 v16, v16, v18
	v_mov_b32_e32 v18, v28
	v_mul_f32_e32 v29, 0xbe3c28d5, v75
	v_fmac_f32_e32 v18, 0x3dbcf732, v38
	v_mov_b32_e32 v19, v29
	v_add_f32_e32 v18, v18, v1
	v_fmac_f32_e32 v19, 0xbf7ba420, v41
	v_mul_f32_e32 v30, 0x3f763a35, v77
	v_add_f32_e32 v18, v19, v18
	v_mov_b32_e32 v19, v30
	v_fmac_f32_e32 v19, 0xbe8c1d8e, v43
	v_mul_f32_e32 v103, 0x3eb8f4ab, v80
	v_add_f32_e32 v18, v19, v18
	v_mov_b32_e32 v19, v103
	;; [unrolled: 4-line block ×5, first 2 shown]
	v_fmac_f32_e32 v19, 0xbf1a4643, v50
	v_mul_f32_e32 v107, 0xbf7ee86f, v64
	v_add_f32_e32 v18, v19, v18
	v_fma_f32 v19, v36, s11, -v107
	v_mul_f32_e32 v108, 0xbe3c28d5, v67
	v_add_f32_e32 v19, v19, v0
	v_fma_f32 v20, v37, s19, -v108
	;; [unrolled: 3-line block ×7, first 2 shown]
	v_mul_f32_e32 v148, 0x3f2c7751, v85
	v_add_f32_e32 v20, v20, v19
	v_mov_b32_e32 v19, v148
	v_fmac_f32_e32 v19, 0x3f3d2fb0, v51
	v_mul_f32_e32 v149, 0x3f2c7751, v83
	v_add_f32_e32 v19, v19, v18
	v_fma_f32 v18, v48, s7, -v149
	v_fmac_f32_e32 v87, 0xbf65296c, v72
	v_add_f32_e32 v18, v18, v20
	v_add_f32_e32 v20, v87, v1
	v_fmac_f32_e32 v89, 0xbf4c4adb, v75
	v_fma_f32 v21, v36, s10, -v95
	v_add_f32_e32 v20, v89, v20
	v_fmac_f32_e32 v90, 0x3e3c28d5, v77
	v_add_f32_e32 v21, v21, v0
	v_fma_f32 v22, v37, s17, -v96
	v_add_f32_e32 v20, v90, v20
	v_fmac_f32_e32 v91, 0x3f763a35, v80
	v_add_f32_e32 v21, v22, v21
	;; [unrolled: 4-line block ×5, first 2 shown]
	v_fma_f32 v22, v44, s6, -v100
	v_add_f32_e32 v20, v94, v20
	v_add_f32_e32 v21, v22, v21
	v_fma_f32 v22, v46, s11, -v101
	v_fmac_f32_e32 v88, 0xbf06c442, v85
	v_add_f32_e32 v22, v22, v21
	v_add_f32_e32 v21, v88, v20
	v_fma_f32 v20, v48, s18, -v102
	v_mul_f32_e32 v72, 0xbf2c7751, v72
	v_add_f32_e32 v20, v20, v22
	v_mov_b32_e32 v22, v72
	v_mul_f32_e32 v75, 0xbf7ee86f, v75
	v_fmac_f32_e32 v22, 0x3f3d2fb0, v38
	v_mov_b32_e32 v23, v75
	v_add_f32_e32 v22, v22, v1
	v_fmac_f32_e32 v23, 0x3dbcf732, v41
	v_mul_f32_e32 v77, 0xbf4c4adb, v77
	v_add_f32_e32 v22, v23, v22
	v_mov_b32_e32 v23, v77
	v_fmac_f32_e32 v23, 0xbf1a4643, v43
	v_mul_f32_e32 v80, 0xbe3c28d5, v80
	v_add_f32_e32 v22, v23, v22
	v_mov_b32_e32 v23, v80
	;; [unrolled: 4-line block ×5, first 2 shown]
	v_fmac_f32_e32 v23, 0x3ee437d1, v50
	v_mul_f32_e32 v64, 0xbf2c7751, v64
	v_add_f32_e32 v22, v23, v22
	v_fma_f32 v23, v36, s7, -v64
	v_mul_f32_e32 v67, 0xbf7ee86f, v67
	v_add_f32_e32 v23, v23, v0
	v_fma_f32 v24, v37, s11, -v67
	;; [unrolled: 3-line block ×7, first 2 shown]
	v_mul_f32_e32 v85, 0x3eb8f4ab, v85
	v_add_f32_e32 v24, v24, v23
	v_mov_b32_e32 v23, v85
	v_fmac_f32_e32 v23, 0x3f6eb680, v51
	v_mul_f32_e32 v83, 0x3eb8f4ab, v83
	v_add_f32_e32 v23, v23, v22
	v_fma_f32 v22, v48, s6, -v83
	v_add_f32_e32 v22, v22, v24
	v_mul_f32_e32 v24, 0x3f6eb680, v38
	v_mul_f32_e32 v26, 0x3f6eb680, v36
	v_add_f32_e32 v24, v58, v24
	v_mul_f32_e32 v25, 0x3f3d2fb0, v41
	v_sub_f32_e32 v26, v26, v54
	v_mul_f32_e32 v54, 0x3f3d2fb0, v37
	v_add_f32_e32 v25, v60, v25
	v_add_f32_e32 v24, v24, v1
	v_sub_f32_e32 v54, v54, v55
	v_add_f32_e32 v26, v26, v0
	v_add_f32_e32 v24, v25, v24
	v_mul_f32_e32 v25, 0x3ee437d1, v43
	v_add_f32_e32 v26, v54, v26
	v_mul_f32_e32 v54, 0x3ee437d1, v39
	v_add_f32_e32 v25, v62, v25
	v_sub_f32_e32 v54, v54, v57
	v_add_f32_e32 v24, v25, v24
	v_mul_f32_e32 v25, 0x3dbcf732, v45
	v_add_f32_e32 v26, v54, v26
	v_mul_f32_e32 v54, 0x3dbcf732, v40
	v_add_f32_e32 v25, v65, v25
	v_sub_f32_e32 v54, v54, v59
	;; [unrolled: 6-line block ×6, first 2 shown]
	v_add_f32_e32 v4, v4, v116
	v_add_f32_e32 v25, v25, v24
	;; [unrolled: 1-line block ×5, first 2 shown]
	v_fma_f32 v6, v38, s19, -v117
	v_fma_f32 v26, v38, s17, -v27
	;; [unrolled: 1-line block ×3, first 2 shown]
	v_add_f32_e32 v5, v7, v5
	v_add_f32_e32 v6, v6, v1
	v_fma_f32 v7, v41, s6, -v118
	v_add_f32_e32 v26, v26, v1
	v_fma_f32 v27, v41, s16, -v31
	;; [unrolled: 2-line block ×15, first 2 shown]
	v_fma_f32 v30, v38, s7, -v72
	v_add_f32_e32 v6, v7, v6
	v_fma_f32 v7, v50, s16, -v123
	v_add_f32_e32 v26, v27, v26
	;; [unrolled: 2-line block ×5, first 2 shown]
	v_fma_f32 v7, v51, s11, -v134
	v_fmac_f32_e32 v124, 0xbf7ba420, v36
	v_add_f32_e32 v26, v27, v26
	v_fma_f32 v27, v51, s10, -v145
	v_fmac_f32_e32 v138, 0xbf1a4643, v36
	v_add_f32_e32 v28, v29, v28
	;; [unrolled: 3-line block ×4, first 2 shown]
	v_add_f32_e32 v6, v124, v0
	v_fmac_f32_e32 v127, 0x3f6eb680, v37
	v_add_f32_e32 v27, v27, v26
	v_add_f32_e32 v26, v138, v0
	v_fmac_f32_e32 v139, 0xbe8c1d8e, v37
	v_add_f32_e32 v29, v29, v28
	;; [unrolled: 3-line block ×3, first 2 shown]
	v_fma_f32 v30, v45, s19, -v80
	v_add_f32_e32 v0, v64, v0
	v_fmac_f32_e32 v67, 0x3dbcf732, v37
	v_add_f32_e32 v6, v127, v6
	v_fmac_f32_e32 v128, 0xbf59a7d5, v39
	v_add_f32_e32 v26, v139, v26
	v_fmac_f32_e32 v140, 0x3f6eb680, v39
	v_add_f32_e32 v28, v108, v28
	v_fmac_f32_e32 v109, 0xbe8c1d8e, v39
	v_add_f32_e32 v1, v30, v1
	v_fma_f32 v30, v47, s18, -v82
	v_add_f32_e32 v0, v67, v0
	v_fmac_f32_e32 v70, 0xbf1a4643, v39
	v_add_f32_e32 v6, v128, v6
	v_fmac_f32_e32 v129, 0x3f3d2fb0, v40
	v_add_f32_e32 v26, v140, v26
	v_fmac_f32_e32 v141, 0xbf59a7d5, v40
	v_add_f32_e32 v28, v109, v28
	v_fmac_f32_e32 v110, 0x3f6eb680, v40
	v_add_f32_e32 v1, v30, v1
	;; [unrolled: 10-line block ×5, first 2 shown]
	v_add_f32_e32 v0, v79, v0
	v_fmac_f32_e32 v81, 0x3ee437d1, v46
	v_mul_lo_u16_e32 v30, 17, v125
	v_add_f32_e32 v5, v33, v5
	v_add_f32_e32 v4, v32, v4
	;; [unrolled: 1-line block ×3, first 2 shown]
	v_fmac_f32_e32 v135, 0x3dbcf732, v48
	v_add_f32_e32 v26, v144, v26
	v_fmac_f32_e32 v146, 0x3ee437d1, v48
	v_add_f32_e32 v28, v147, v28
	;; [unrolled: 2-line block ×3, first 2 shown]
	v_fmac_f32_e32 v83, 0x3f6eb680, v48
	v_lshlrev_b32_e32 v30, 3, v30
	v_add_f32_e32 v6, v135, v6
	v_add_f32_e32 v26, v146, v26
	;; [unrolled: 1-line block ×4, first 2 shown]
	ds_write2_b64 v30, v[4:5], v[24:25] offset1:1
	ds_write2_b64 v30, v[22:23], v[20:21] offset0:2 offset1:3
	ds_write2_b64 v30, v[18:19], v[16:17] offset0:4 offset1:5
	;; [unrolled: 1-line block ×7, first 2 shown]
	ds_write_b64 v30, v[52:53] offset:128
.LBB0_7:
	s_or_b64 exec, exec, s[4:5]
	s_load_dwordx4 s[4:7], s[2:3], 0x0
	s_movk_i32 s2, 0xf1
	v_mul_lo_u16_sdwa v0, v125, s2 dst_sel:DWORD dst_unused:UNUSED_PAD src0_sel:BYTE_0 src1_sel:DWORD
	v_lshrrev_b16_e32 v41, 12, v0
	v_mul_lo_u16_e32 v0, 17, v41
	v_sub_u16_e32 v42, v125, v0
	v_add_u16_e32 v0, 51, v125
	v_mul_lo_u16_sdwa v1, v0, s2 dst_sel:DWORD dst_unused:UNUSED_PAD src0_sel:BYTE_0 src1_sel:DWORD
	v_lshrrev_b16_e32 v43, 12, v1
	v_add_u16_e32 v4, 0x66, v125
	v_mul_lo_u16_e32 v3, 17, v43
	v_mul_lo_u16_sdwa v6, v4, s2 dst_sel:DWORD dst_unused:UNUSED_PAD src0_sel:BYTE_0 src1_sel:DWORD
	v_sub_u16_e32 v3, v0, v3
	v_lshrrev_b16_e32 v45, 12, v6
	v_and_b32_e32 v44, 0xff, v3
	v_mul_lo_u16_e32 v3, 17, v45
	v_sub_u16_e32 v3, v4, v3
	v_and_b32_e32 v46, 0xff, v3
	v_add_u16_e32 v3, 0x99, v125
	v_mul_lo_u16_sdwa v5, v3, s2 dst_sel:DWORD dst_unused:UNUSED_PAD src0_sel:BYTE_0 src1_sel:DWORD
	v_lshrrev_b16_e32 v47, 12, v5
	v_mul_lo_u16_e32 v10, 17, v47
	v_mov_b32_e32 v7, 3
	v_sub_u16_e32 v10, v3, v10
	v_lshlrev_b32_sdwa v2, v7, v42 dst_sel:DWORD dst_unused:UNUSED_PAD src0_sel:DWORD src1_sel:BYTE_0
	v_lshlrev_b32_e32 v8, 3, v44
	v_and_b32_e32 v48, 0xff, v10
	v_add_u16_e32 v79, 0xcc, v125
	s_waitcnt lgkmcnt(0)
	; wave barrier
	s_waitcnt lgkmcnt(0)
	v_lshlrev_b32_e32 v9, 3, v46
	v_lshlrev_b32_e32 v10, 3, v48
	global_load_dwordx2 v[63:64], v2, s[8:9]
	global_load_dwordx2 v[61:62], v8, s[8:9]
	;; [unrolled: 1-line block ×4, first 2 shown]
	v_mul_lo_u16_sdwa v8, v79, s2 dst_sel:DWORD dst_unused:UNUSED_PAD src0_sel:BYTE_0 src1_sel:DWORD
	v_lshrrev_b16_e32 v49, 12, v8
	v_mul_lo_u16_e32 v2, 17, v49
	v_sub_u16_e32 v2, v79, v2
	v_add_u16_e32 v80, 0xff, v125
	v_and_b32_e32 v50, 0xff, v2
	v_mul_u32_u24_e32 v2, 0xf0f1, v80
	v_lshrrev_b32_e32 v51, 20, v2
	v_mul_lo_u16_e32 v10, 17, v51
	v_add_u16_e32 v81, 0x132, v125
	v_sub_u16_e32 v73, v80, v10
	v_mul_u32_u24_e32 v11, 0xf0f1, v81
	v_lshlrev_b32_e32 v9, 3, v50
	v_lshlrev_b32_e32 v10, 3, v73
	v_lshrrev_b32_e32 v74, 20, v11
	global_load_dwordx2 v[67:68], v9, s[8:9]
	global_load_dwordx2 v[65:66], v10, s[8:9]
	v_mul_lo_u16_e32 v9, 17, v74
	v_add_u16_e32 v82, 0x165, v125
	v_sub_u16_e32 v75, v81, v9
	v_mul_u32_u24_e32 v10, 0xf0f1, v82
	v_lshlrev_b32_e32 v9, 3, v75
	v_lshrrev_b32_e32 v76, 20, v10
	global_load_dwordx2 v[71:72], v9, s[8:9]
	v_mul_lo_u16_e32 v9, 17, v76
	v_sub_u16_e32 v77, v82, v9
	v_lshlrev_b32_e32 v9, 3, v77
	global_load_dwordx2 v[69:70], v9, s[8:9]
	v_lshlrev_b32_sdwa v127, v7, v125 dst_sel:DWORD dst_unused:UNUSED_PAD src0_sel:DWORD src1_sel:WORD_0
	v_add_u32_e32 v78, 0x800, v127
	v_add_u32_e32 v25, 0xc00, v127
	ds_read2_b64 v[9:12], v127 offset1:51
	ds_read2_b64 v[13:16], v127 offset0:102 offset1:153
	ds_read2_b64 v[17:20], v127 offset0:204 offset1:255
	v_add_u32_e32 v83, 0x1000, v127
	ds_read2_b64 v[21:24], v78 offset0:152 offset1:203
	ds_read2_b64 v[25:28], v25 offset0:126 offset1:177
	;; [unrolled: 1-line block ×5, first 2 shown]
	s_waitcnt lgkmcnt(0)
	; wave barrier
	s_waitcnt lgkmcnt(0)
	v_cmp_gt_u16_e64 s[2:3], 17, v125
	s_waitcnt vmcnt(7)
	v_mul_f32_e32 v55, v21, v64
	v_mul_f32_e32 v54, v22, v64
	v_fmac_f32_e32 v55, v22, v63
	s_waitcnt vmcnt(6)
	v_mul_f32_e32 v22, v24, v62
	v_fma_f32 v21, v21, v63, -v54
	v_mul_f32_e32 v54, v23, v62
	v_fma_f32 v23, v23, v61, -v22
	s_waitcnt vmcnt(5)
	v_mul_f32_e32 v84, v26, v60
	s_waitcnt vmcnt(4)
	v_mul_f32_e32 v86, v28, v58
	v_mul_f32_e32 v85, v25, v60
	v_fma_f32 v25, v25, v59, -v84
	v_fma_f32 v84, v27, v57, -v86
	v_mul_f32_e32 v86, v27, v58
	v_fmac_f32_e32 v54, v24, v61
	v_fmac_f32_e32 v85, v26, v59
	;; [unrolled: 1-line block ×3, first 2 shown]
	v_sub_f32_e32 v21, v9, v21
	v_sub_f32_e32 v23, v11, v23
	;; [unrolled: 1-line block ×3, first 2 shown]
	s_waitcnt vmcnt(3)
	v_mul_f32_e32 v22, v30, v68
	v_fma_f32 v87, v29, v67, -v22
	s_waitcnt vmcnt(2)
	v_mul_f32_e32 v22, v32, v66
	v_fma_f32 v89, v31, v65, -v22
	v_mul_f32_e32 v88, v29, v68
	v_mul_f32_e32 v90, v31, v66
	v_fmac_f32_e32 v88, v30, v67
	v_fmac_f32_e32 v90, v32, v65
	s_waitcnt vmcnt(1)
	v_mul_f32_e32 v22, v38, v72
	v_fma_f32 v91, v37, v71, -v22
	v_mul_f32_e32 v92, v37, v72
	v_fmac_f32_e32 v92, v38, v71
	s_waitcnt vmcnt(0)
	v_mul_f32_e32 v22, v40, v70
	v_fma_f32 v93, v39, v69, -v22
	v_mul_f32_e32 v39, v39, v70
	v_fmac_f32_e32 v39, v40, v69
	v_sub_f32_e32 v22, v10, v55
	v_sub_f32_e32 v55, v36, v39
	v_mad_legacy_u16 v39, v41, 34, v42
	v_lshlrev_b32_sdwa v128, v7, v39 dst_sel:DWORD dst_unused:UNUSED_PAD src0_sel:DWORD src1_sel:BYTE_0
	v_mul_lo_u16_e32 v7, 34, v43
	v_and_b32_e32 v7, 0xfe, v7
	v_add_lshl_u32 v129, v7, v44, 3
	v_mul_u32_u24_e32 v7, 34, v45
	v_add_lshl_u32 v130, v7, v46, 3
	v_mul_u32_u24_e32 v7, 34, v47
	;; [unrolled: 2-line block ×3, first 2 shown]
	v_add_lshl_u32 v132, v7, v50, 3
	v_mad_legacy_u16 v7, v51, 34, v73
	v_lshlrev_b32_e32 v133, 3, v7
	v_mad_legacy_u16 v7, v74, 34, v75
	v_sub_f32_e32 v25, v13, v25
	v_sub_f32_e32 v26, v14, v85
	v_sub_f32_e32 v27, v15, v84
	v_sub_f32_e32 v28, v16, v86
	v_sub_f32_e32 v29, v17, v87
	v_sub_f32_e32 v30, v18, v88
	v_sub_f32_e32 v31, v19, v89
	v_sub_f32_e32 v32, v20, v90
	v_sub_f32_e32 v37, v33, v91
	v_sub_f32_e32 v38, v34, v92
	v_sub_f32_e32 v54, v35, v93
	v_lshlrev_b32_e32 v134, 3, v7
	v_mad_legacy_u16 v7, v76, 34, v77
	v_fma_f32 v9, v9, 2.0, -v21
	v_fma_f32 v10, v10, 2.0, -v22
	;; [unrolled: 1-line block ×16, first 2 shown]
	v_lshlrev_b32_e32 v135, 3, v7
	v_add_u32_e32 v7, 0x400, v127
	ds_write2_b64 v128, v[9:10], v[21:22] offset1:17
	ds_write2_b64 v129, v[11:12], v[23:24] offset1:17
	;; [unrolled: 1-line block ×8, first 2 shown]
	s_waitcnt lgkmcnt(0)
	; wave barrier
	s_waitcnt lgkmcnt(0)
	ds_read2_b64 v[32:35], v127 offset1:51
	ds_read2_b64 v[24:27], v7 offset0:76 offset1:144
	ds_read2_b64 v[36:39], v83 offset0:32 offset1:83
	;; [unrolled: 1-line block ×6, first 2 shown]
	ds_read_b64 v[75:76], v127 offset:5984
                                        ; implicit-def: $vgpr73
	s_and_saveexec_b64 s[10:11], s[2:3]
	s_cbranch_execz .LBB0_9
; %bb.8:
	ds_read_b64 v[54:55], v127 offset:2040
	ds_read_b64 v[52:53], v127 offset:4216
	;; [unrolled: 1-line block ×3, first 2 shown]
.LBB0_9:
	s_or_b64 exec, exec, s[10:11]
	v_lshrrev_b16_e32 v85, 13, v6
	v_mul_lo_u16_e32 v6, 34, v85
	v_sub_u16_e32 v4, v4, v6
	v_lshrrev_b16_e32 v87, 13, v5
	v_add_co_u32_e32 v7, vcc, 0xffffffde, v125
	v_and_b32_e32 v86, 0xff, v4
	v_mul_lo_u16_e32 v4, 34, v87
	v_addc_co_u32_e64 v9, s[10:11], 0, -1, vcc
	v_cmp_gt_u16_e32 vcc, 34, v125
	v_sub_u16_e32 v3, v3, v4
	v_cndmask_b32_e64 v78, v9, 0, vcc
	v_cndmask_b32_e32 v77, v7, v125, vcc
	v_and_b32_e32 v88, 0xff, v3
	v_lshlrev_b64 v[16:17], 4, v[77:78]
	v_lshlrev_b32_e32 v9, 4, v86
	v_lshlrev_b32_e32 v3, 4, v88
	v_lshrrev_b16_e32 v89, 13, v8
	v_lshrrev_b16_e32 v91, 13, v1
	global_load_dwordx4 v[12:15], v9, s[8:9] offset:136
	global_load_dwordx4 v[4:7], v3, s[8:9] offset:136
	v_mul_lo_u16_e32 v3, 34, v89
	v_mul_lo_u16_e32 v1, 34, v91
	v_mov_b32_e32 v78, s9
	v_sub_u16_e32 v3, v79, v3
	v_add_co_u32_e32 v16, vcc, s8, v16
	v_sub_u16_e32 v0, v0, v1
	v_and_b32_e32 v90, 0xff, v3
	v_addc_co_u32_e32 v17, vcc, v78, v17, vcc
	v_and_b32_e32 v92, 0xff, v0
	v_lshlrev_b32_e32 v3, 4, v90
	global_load_dwordx4 v[20:23], v[16:17], off offset:136
	v_lshlrev_b32_e32 v0, 4, v92
	global_load_dwordx4 v[8:11], v3, s[8:9] offset:136
	global_load_dwordx4 v[16:19], v0, s[8:9] offset:136
	v_lshrrev_b32_e32 v0, 21, v2
	v_mul_lo_u16_e32 v0, 34, v0
	v_sub_u16_e32 v93, v80, v0
	v_lshlrev_b16_e32 v0, 4, v93
	v_add_co_u32_e32 v0, vcc, s8, v0
	v_addc_co_u32_e32 v1, vcc, 0, v78, vcc
	global_load_dwordx4 v[0:3], v[0:1], off offset:136
	v_cmp_lt_u16_e32 vcc, 33, v125
	s_waitcnt lgkmcnt(0)
	; wave barrier
	s_waitcnt lgkmcnt(0)
	v_lshlrev_b32_e32 v140, 3, v93
	s_waitcnt vmcnt(5)
	v_mul_f32_e32 v78, v43, v13
	v_mul_f32_e32 v83, v42, v13
	v_fma_f32 v78, v42, v12, -v78
	v_fmac_f32_e32 v83, v43, v12
	s_waitcnt vmcnt(4)
	v_mul_f32_e32 v97, v47, v7
	v_mul_f32_e32 v94, v44, v15
	;; [unrolled: 1-line block ×3, first 2 shown]
	v_fma_f32 v97, v46, v6, -v97
	v_mul_f32_e32 v84, v45, v15
	v_fmac_f32_e32 v94, v45, v14
	v_fma_f32 v84, v44, v14, -v84
	v_fmac_f32_e32 v98, v47, v6
	v_mul_f32_e32 v95, v49, v5
	v_mul_f32_e32 v96, v48, v5
	s_waitcnt vmcnt(3)
	v_mul_f32_e32 v103, v27, v21
	v_mul_f32_e32 v105, v37, v23
	v_fma_f32 v42, v26, v20, -v103
	s_waitcnt vmcnt(1)
	v_mul_f32_e32 v110, v38, v19
	v_fma_f32 v43, v36, v22, -v105
	v_mul_f32_e32 v104, v26, v21
	v_mul_f32_e32 v106, v36, v23
	;; [unrolled: 1-line block ×3, first 2 shown]
	v_fmac_f32_e32 v110, v39, v18
	v_add_f32_e32 v39, v42, v43
	v_mul_f32_e32 v107, v41, v17
	v_mul_f32_e32 v108, v40, v17
	v_fmac_f32_e32 v104, v27, v20
	v_fmac_f32_e32 v106, v37, v22
	v_fma_f32 v46, v38, v18, -v109
	v_add_f32_e32 v38, v32, v42
	v_fma_f32 v32, -0.5, v39, v32
	v_fma_f32 v45, v40, v16, -v107
	v_fmac_f32_e32 v108, v41, v16
	v_sub_f32_e32 v39, v104, v106
	v_mov_b32_e32 v40, v32
	v_add_f32_e32 v41, v104, v106
	v_fmac_f32_e32 v40, 0x3f5db3d7, v39
	v_fmac_f32_e32 v32, 0xbf5db3d7, v39
	v_add_f32_e32 v39, v33, v104
	v_fma_f32 v33, -0.5, v41, v33
	v_add_f32_e32 v38, v38, v43
	v_sub_f32_e32 v42, v42, v43
	v_mov_b32_e32 v41, v33
	v_add_f32_e32 v43, v45, v46
	v_fmac_f32_e32 v41, 0xbf5db3d7, v42
	v_fmac_f32_e32 v33, 0x3f5db3d7, v42
	v_add_f32_e32 v42, v34, v45
	v_fma_f32 v34, -0.5, v43, v34
	v_sub_f32_e32 v43, v108, v110
	v_mov_b32_e32 v44, v34
	v_add_f32_e32 v47, v108, v110
	v_fmac_f32_e32 v44, 0x3f5db3d7, v43
	v_fmac_f32_e32 v34, 0xbf5db3d7, v43
	v_add_f32_e32 v43, v35, v108
	v_fmac_f32_e32 v35, -0.5, v47
	v_add_f32_e32 v42, v42, v46
	v_sub_f32_e32 v46, v45, v46
	v_mov_b32_e32 v45, v35
	v_add_f32_e32 v47, v78, v84
	v_fmac_f32_e32 v45, 0xbf5db3d7, v46
	v_fmac_f32_e32 v35, 0x3f5db3d7, v46
	v_add_f32_e32 v46, v28, v78
	v_fma_f32 v28, -0.5, v47, v28
	v_fma_f32 v95, v48, v4, -v95
	v_fmac_f32_e32 v96, v49, v4
	v_sub_f32_e32 v47, v83, v94
	v_mov_b32_e32 v48, v28
	v_add_f32_e32 v49, v83, v94
	v_mul_f32_e32 v99, v51, v9
	v_mul_f32_e32 v100, v50, v9
	v_fmac_f32_e32 v48, 0x3f5db3d7, v47
	v_fmac_f32_e32 v28, 0xbf5db3d7, v47
	v_add_f32_e32 v47, v29, v83
	v_fma_f32 v29, -0.5, v49, v29
	v_fma_f32 v99, v50, v8, -v99
	v_fmac_f32_e32 v100, v51, v8
	v_sub_f32_e32 v50, v78, v84
	v_mov_b32_e32 v49, v29
	v_add_f32_e32 v51, v95, v97
	s_waitcnt vmcnt(0)
	v_mul_f32_e32 v26, v53, v1
	v_mul_f32_e32 v27, v52, v1
	v_fmac_f32_e32 v49, 0xbf5db3d7, v50
	v_fmac_f32_e32 v29, 0x3f5db3d7, v50
	v_add_f32_e32 v50, v30, v95
	v_fma_f32 v30, -0.5, v51, v30
	v_fma_f32 v26, v52, v0, -v26
	v_fmac_f32_e32 v27, v53, v0
	v_sub_f32_e32 v51, v96, v98
	v_mov_b32_e32 v52, v30
	v_add_f32_e32 v53, v96, v98
	v_mul_f32_e32 v36, v74, v3
	v_fmac_f32_e32 v52, 0x3f5db3d7, v51
	v_fmac_f32_e32 v30, 0xbf5db3d7, v51
	v_add_f32_e32 v51, v31, v96
	v_fmac_f32_e32 v31, -0.5, v53
	v_mul_f32_e32 v101, v76, v11
	v_fma_f32 v36, v73, v2, -v36
	v_mul_f32_e32 v37, v73, v3
	v_sub_f32_e32 v73, v95, v97
	v_mov_b32_e32 v53, v31
	v_fma_f32 v101, v75, v10, -v101
	v_fmac_f32_e32 v53, 0xbf5db3d7, v73
	v_fmac_f32_e32 v31, 0x3f5db3d7, v73
	v_add_f32_e32 v73, v24, v99
	v_mul_f32_e32 v102, v75, v11
	v_add_f32_e32 v75, v73, v101
	v_add_f32_e32 v73, v99, v101
	v_fmac_f32_e32 v102, v76, v10
	v_fma_f32 v24, -0.5, v73, v24
	v_sub_f32_e32 v73, v100, v102
	v_mov_b32_e32 v83, v24
	v_fmac_f32_e32 v83, 0x3f5db3d7, v73
	v_fmac_f32_e32 v24, 0xbf5db3d7, v73
	v_add_f32_e32 v73, v25, v100
	v_add_f32_e32 v76, v73, v102
	;; [unrolled: 1-line block ×3, first 2 shown]
	v_fmac_f32_e32 v25, -0.5, v73
	v_add_f32_e32 v46, v46, v84
	v_sub_f32_e32 v73, v99, v101
	v_mov_b32_e32 v84, v25
	v_fmac_f32_e32 v84, 0xbf5db3d7, v73
	v_fmac_f32_e32 v25, 0x3f5db3d7, v73
	v_add_f32_e32 v73, v26, v36
	v_fmac_f32_e32 v37, v74, v2
	v_fma_f32 v73, -0.5, v73, v54
	v_sub_f32_e32 v74, v27, v37
	v_mov_b32_e32 v111, v73
	v_fmac_f32_e32 v111, 0x3f5db3d7, v74
	v_fmac_f32_e32 v73, 0xbf5db3d7, v74
	v_add_f32_e32 v74, v27, v37
	v_fma_f32 v74, -0.5, v74, v55
	v_sub_f32_e32 v78, v26, v36
	v_mov_b32_e32 v112, v74
	v_fmac_f32_e32 v112, 0xbf5db3d7, v78
	v_fmac_f32_e32 v74, 0x3f5db3d7, v78
	v_mov_b32_e32 v78, 0x66
	v_cndmask_b32_e32 v78, 0, v78, vcc
	v_add_f32_e32 v39, v39, v106
	v_add_lshl_u32 v141, v77, v78, 3
	ds_write2_b64 v141, v[38:39], v[40:41] offset1:34
	ds_write_b64 v141, v[32:33] offset:544
	v_mul_u32_u24_e32 v32, 0x66, v91
	v_add_lshl_u32 v142, v32, v92, 3
	v_mul_u32_u24_e32 v32, 0x66, v85
	v_add_f32_e32 v43, v43, v110
	v_add_f32_e32 v47, v47, v94
	v_add_lshl_u32 v143, v32, v86, 3
	ds_write2_b64 v142, v[42:43], v[44:45] offset1:34
	ds_write_b64 v142, v[34:35] offset:544
	ds_write2_b64 v143, v[46:47], v[48:49] offset1:34
	ds_write_b64 v143, v[28:29] offset:544
	v_mul_u32_u24_e32 v28, 0x66, v87
	v_add_lshl_u32 v144, v28, v88, 3
	v_mul_u32_u24_e32 v28, 0x66, v89
	v_add_f32_e32 v50, v50, v97
	v_add_f32_e32 v51, v51, v98
	v_add_lshl_u32 v145, v28, v90, 3
	ds_write2_b64 v144, v[50:51], v[52:53] offset1:34
	ds_write_b64 v144, v[30:31] offset:544
	ds_write2_b64 v145, v[75:76], v[83:84] offset1:34
	ds_write_b64 v145, v[24:25] offset:544
	s_and_saveexec_b64 s[10:11], s[2:3]
	s_cbranch_execz .LBB0_11
; %bb.10:
	v_add_f32_e32 v24, v55, v27
	v_add_f32_e32 v25, v24, v37
	;; [unrolled: 1-line block ×4, first 2 shown]
	v_add_u32_e32 v26, 0x1000, v140
	ds_write2_b64 v26, v[24:25], v[111:112] offset0:202 offset1:236
	ds_write_b64 v140, v[73:74] offset:6256
.LBB0_11:
	s_or_b64 exec, exec, s[10:11]
	s_movk_i32 s10, 0xa1
	v_mul_lo_u16_sdwa v28, v79, s10 dst_sel:DWORD dst_unused:UNUSED_PAD src0_sel:BYTE_0 src1_sel:DWORD
	v_mul_u32_u24_e32 v25, 0xa0a1, v80
	v_lshrrev_b16_e32 v28, 14, v28
	v_mul_u32_u24_e32 v26, 0xa0a1, v81
	v_lshrrev_b32_e32 v25, 22, v25
	v_mul_lo_u16_e32 v28, 0x66, v28
	v_mov_b32_e32 v24, 3
	v_mul_u32_u24_e32 v27, 0xa0a1, v82
	v_lshrrev_b32_e32 v26, 22, v26
	v_mul_lo_u16_e32 v25, 0x66, v25
	v_sub_u16_e32 v28, v79, v28
	s_waitcnt lgkmcnt(0)
	; wave barrier
	s_waitcnt lgkmcnt(0)
	global_load_dwordx2 v[75:76], v126, s[8:9] offset:680
	global_load_dwordx2 v[77:78], v126, s[8:9] offset:1088
	v_lshrrev_b32_e32 v27, 22, v27
	v_mul_lo_u16_e32 v26, 0x66, v26
	v_sub_u16_e32 v25, v80, v25
	v_lshlrev_b32_sdwa v139, v24, v28 dst_sel:DWORD dst_unused:UNUSED_PAD src0_sel:DWORD src1_sel:BYTE_0
	v_mul_lo_u16_e32 v27, 0x66, v27
	v_sub_u16_e32 v26, v81, v26
	global_load_dwordx2 v[85:86], v139, s[8:9] offset:680
	v_lshlrev_b32_e32 v138, 3, v25
	global_load_dwordx2 v[83:84], v138, s[8:9] offset:680
	v_sub_u16_e32 v27, v82, v27
	v_lshlrev_b32_e32 v137, 3, v26
	global_load_dwordx2 v[81:82], v137, s[8:9] offset:680
	v_lshlrev_b32_e32 v136, 3, v27
	global_load_dwordx2 v[79:80], v136, s[8:9] offset:680
	ds_read2_b64 v[24:27], v127 offset1:51
	v_add_u32_e32 v117, 0x800, v127
	ds_read2_b64 v[28:31], v127 offset0:102 offset1:153
	v_add_u32_e32 v118, 0xc00, v127
	ds_read2_b64 v[32:35], v127 offset0:204 offset1:255
	;; [unrolled: 2-line block ×3, first 2 shown]
	ds_read2_b64 v[40:43], v118 offset0:126 offset1:177
	ds_read2_b64 v[44:47], v119 offset0:100 offset1:151
	;; [unrolled: 1-line block ×4, first 2 shown]
	s_waitcnt lgkmcnt(0)
	; wave barrier
	s_waitcnt lgkmcnt(0)
	v_add_co_u32_e32 v101, vcc, s8, v126
	s_movk_i32 s16, 0x1000
	s_waitcnt vmcnt(5)
	v_mul_f32_e32 v88, v36, v76
	v_mul_f32_e32 v87, v37, v76
	s_waitcnt vmcnt(4)
	v_mul_f32_e32 v89, v39, v78
	v_mul_f32_e32 v90, v38, v78
	v_fmac_f32_e32 v88, v37, v75
	v_mul_f32_e32 v91, v41, v76
	v_mul_f32_e32 v92, v40, v76
	;; [unrolled: 1-line block ×4, first 2 shown]
	v_fma_f32 v36, v36, v75, -v87
	v_fma_f32 v38, v38, v77, -v89
	v_fmac_f32_e32 v90, v39, v77
	v_sub_f32_e32 v37, v25, v88
	s_waitcnt vmcnt(3)
	v_mul_f32_e32 v87, v45, v86
	v_mul_f32_e32 v88, v44, v86
	v_fma_f32 v40, v40, v75, -v91
	v_fmac_f32_e32 v92, v41, v75
	v_fma_f32 v42, v42, v77, -v93
	v_fmac_f32_e32 v94, v43, v77
	v_sub_f32_e32 v36, v24, v36
	v_sub_f32_e32 v38, v26, v38
	;; [unrolled: 1-line block ×3, first 2 shown]
	s_waitcnt vmcnt(2)
	v_mul_f32_e32 v89, v47, v84
	v_mul_f32_e32 v90, v46, v84
	v_fma_f32 v44, v44, v85, -v87
	v_fmac_f32_e32 v88, v45, v85
	v_sub_f32_e32 v40, v28, v40
	v_sub_f32_e32 v41, v29, v92
	;; [unrolled: 1-line block ×4, first 2 shown]
	v_fma_f32 v24, v24, 2.0, -v36
	v_fma_f32 v25, v25, 2.0, -v37
	;; [unrolled: 1-line block ×4, first 2 shown]
	s_waitcnt vmcnt(1)
	v_mul_f32_e32 v91, v53, v82
	v_mul_f32_e32 v92, v52, v82
	v_fma_f32 v46, v46, v83, -v89
	v_fmac_f32_e32 v90, v47, v83
	v_sub_f32_e32 v44, v32, v44
	v_sub_f32_e32 v45, v33, v88
	v_fma_f32 v28, v28, 2.0, -v40
	v_fma_f32 v29, v29, 2.0, -v41
	;; [unrolled: 1-line block ×3, first 2 shown]
	s_waitcnt vmcnt(0)
	v_mul_f32_e32 v93, v55, v80
	v_mul_f32_e32 v94, v54, v80
	v_fma_f32 v52, v52, v81, -v91
	v_fmac_f32_e32 v92, v53, v81
	v_fma_f32 v31, v31, 2.0, -v43
	v_fma_f32 v32, v32, 2.0, -v44
	;; [unrolled: 1-line block ×3, first 2 shown]
	v_sub_f32_e32 v46, v34, v46
	v_sub_f32_e32 v47, v35, v90
	ds_write2_b64 v127, v[24:25], v[26:27] offset1:51
	ds_write2_b64 v127, v[36:37], v[38:39] offset0:102 offset1:153
	ds_write2_b64 v127, v[28:29], v[30:31] offset0:204 offset1:255
	;; [unrolled: 1-line block ×3, first 2 shown]
	v_add_u32_e32 v24, 0x800, v139
	v_fma_f32 v54, v54, v79, -v93
	v_fmac_f32_e32 v94, v55, v79
	v_fma_f32 v34, v34, 2.0, -v46
	v_fma_f32 v35, v35, 2.0, -v47
	v_sub_f32_e32 v52, v48, v52
	v_sub_f32_e32 v53, v49, v92
	ds_write2_b64 v24, v[32:33], v[44:45] offset0:152 offset1:254
	v_add_u32_e32 v24, 0x800, v138
	v_fma_f32 v48, v48, 2.0, -v52
	v_fma_f32 v49, v49, 2.0, -v53
	v_sub_f32_e32 v54, v50, v54
	v_sub_f32_e32 v55, v51, v94
	ds_write2_b64 v24, v[34:35], v[46:47] offset0:152 offset1:254
	v_add_u32_e32 v24, 0x1000, v137
	v_fma_f32 v50, v50, 2.0, -v54
	v_fma_f32 v51, v51, 2.0, -v55
	ds_write2_b64 v24, v[48:49], v[52:53] offset0:100 offset1:202
	v_add_u32_e32 v24, 0x1000, v136
	ds_write2_b64 v24, v[50:51], v[54:55] offset0:100 offset1:202
	s_waitcnt lgkmcnt(0)
	; wave barrier
	s_waitcnt lgkmcnt(0)
	global_load_dwordx2 v[87:88], v126, s[8:9] offset:1496
	global_load_dwordx2 v[89:90], v126, s[8:9] offset:1904
	;; [unrolled: 1-line block ×4, first 2 shown]
	v_mov_b32_e32 v24, s9
	v_addc_co_u32_e32 v102, vcc, 0, v24, vcc
	ds_read2_b64 v[24:27], v127 offset1:51
	ds_read2_b64 v[28:31], v117 offset0:152 offset1:203
	ds_read2_b64 v[32:35], v127 offset0:102 offset1:153
	;; [unrolled: 1-line block ×7, first 2 shown]
	s_waitcnt lgkmcnt(0)
	; wave barrier
	s_waitcnt vmcnt(3) lgkmcnt(0)
	v_mul_f32_e32 v95, v29, v88
	v_mul_f32_e32 v96, v28, v88
	s_waitcnt vmcnt(2)
	v_mul_f32_e32 v97, v31, v90
	v_mul_f32_e32 v98, v30, v90
	s_waitcnt vmcnt(1)
	;; [unrolled: 3-line block ×3, first 2 shown]
	v_mul_f32_e32 v103, v39, v94
	v_mul_f32_e32 v104, v38, v94
	;; [unrolled: 1-line block ×10, first 2 shown]
	v_fma_f32 v28, v28, v87, -v95
	v_fmac_f32_e32 v96, v29, v87
	v_fma_f32 v30, v30, v89, -v97
	v_fmac_f32_e32 v98, v31, v89
	;; [unrolled: 2-line block ×8, first 2 shown]
	v_sub_f32_e32 v28, v24, v28
	v_sub_f32_e32 v29, v25, v96
	;; [unrolled: 1-line block ×4, first 2 shown]
	v_fma_f32 v24, v24, 2.0, -v28
	v_fma_f32 v25, v25, 2.0, -v29
	;; [unrolled: 1-line block ×4, first 2 shown]
	v_sub_f32_e32 v36, v32, v36
	v_sub_f32_e32 v37, v33, v100
	;; [unrolled: 1-line block ×12, first 2 shown]
	v_fma_f32 v32, v32, 2.0, -v36
	v_fma_f32 v33, v33, 2.0, -v37
	;; [unrolled: 1-line block ×12, first 2 shown]
	ds_write2_b64 v127, v[24:25], v[26:27] offset1:51
	ds_write2_b64 v127, v[28:29], v[30:31] offset0:204 offset1:255
	ds_write2_b64 v127, v[32:33], v[34:35] offset0:102 offset1:153
	;; [unrolled: 1-line block ×7, first 2 shown]
	v_add_co_u32_e32 v24, vcc, s16, v101
	s_waitcnt lgkmcnt(0)
	; wave barrier
	s_waitcnt lgkmcnt(0)
	global_load_dwordx2 v[95:96], v126, s[8:9] offset:3128
	global_load_dwordx2 v[97:98], v126, s[8:9] offset:3536
	;; [unrolled: 1-line block ×3, first 2 shown]
	v_addc_co_u32_e32 v25, vcc, 0, v102, vcc
	global_load_dwordx2 v[101:102], v[24:25], off offset:256
	global_load_dwordx2 v[103:104], v[24:25], off offset:664
	;; [unrolled: 1-line block ×5, first 2 shown]
	ds_read2_b64 v[30:33], v127 offset1:51
	ds_read2_b64 v[24:27], v117 offset0:152 offset1:203
	ds_read2_b64 v[38:41], v127 offset0:102 offset1:153
	;; [unrolled: 1-line block ×7, first 2 shown]
	s_waitcnt vmcnt(7) lgkmcnt(6)
	v_mul_f32_e32 v28, v25, v96
	v_mul_f32_e32 v29, v24, v96
	s_waitcnt vmcnt(6)
	v_mul_f32_e32 v54, v27, v98
	v_mul_f32_e32 v55, v26, v98
	s_waitcnt vmcnt(5) lgkmcnt(4)
	v_mul_f32_e32 v120, v35, v100
	v_mul_f32_e32 v121, v34, v100
	v_fma_f32 v24, v24, v95, -v28
	v_fmac_f32_e32 v29, v25, v95
	s_waitcnt vmcnt(1) lgkmcnt(0)
	v_mul_f32_e32 v25, v51, v108
	v_mul_f32_e32 v122, v37, v102
	;; [unrolled: 1-line block ×6, first 2 shown]
	v_fma_f32 v28, v26, v97, -v54
	v_fmac_f32_e32 v55, v27, v97
	v_fma_f32 v34, v34, v99, -v120
	v_fmac_f32_e32 v121, v35, v99
	v_fma_f32 v120, v50, v107, -v25
	s_waitcnt vmcnt(0)
	v_mul_f32_e32 v25, v53, v110
	v_sub_f32_e32 v26, v30, v24
	v_sub_f32_e32 v27, v31, v29
	v_fma_f32 v36, v36, v101, -v122
	v_fmac_f32_e32 v123, v37, v101
	v_fma_f32 v42, v42, v103, -v124
	v_fmac_f32_e32 v146, v43, v103
	v_fma_f32 v54, v44, v105, -v147
	v_mul_f32_e32 v44, v44, v106
	v_mul_f32_e32 v122, v50, v108
	v_fma_f32 v124, v52, v109, -v25
	v_mul_f32_e32 v52, v52, v110
	v_fma_f32 v24, v30, 2.0, -v26
	v_fma_f32 v25, v31, 2.0, -v27
	v_sub_f32_e32 v30, v32, v28
	v_sub_f32_e32 v31, v33, v55
	;; [unrolled: 1-line block ×4, first 2 shown]
	v_fmac_f32_e32 v44, v45, v105
	v_fmac_f32_e32 v122, v51, v107
	;; [unrolled: 1-line block ×3, first 2 shown]
	v_fma_f32 v28, v32, 2.0, -v30
	v_fma_f32 v29, v33, 2.0, -v31
	;; [unrolled: 1-line block ×4, first 2 shown]
	v_sub_f32_e32 v38, v40, v36
	v_sub_f32_e32 v39, v41, v123
	;; [unrolled: 1-line block ×4, first 2 shown]
	v_fma_f32 v36, v40, 2.0, -v38
	v_fma_f32 v37, v41, 2.0, -v39
	;; [unrolled: 1-line block ×4, first 2 shown]
	v_sub_f32_e32 v46, v48, v54
	v_sub_f32_e32 v47, v49, v44
	;; [unrolled: 1-line block ×6, first 2 shown]
	v_fma_f32 v44, v48, 2.0, -v46
	v_fma_f32 v45, v49, 2.0, -v47
	v_fma_f32 v48, v113, 2.0, -v50
	v_fma_f32 v49, v114, 2.0, -v51
	v_fma_f32 v52, v115, 2.0, -v54
	v_fma_f32 v53, v116, 2.0, -v55
	ds_write2_b64 v127, v[24:25], v[28:29] offset1:51
	ds_write2_b64 v117, v[26:27], v[30:31] offset0:152 offset1:203
	ds_write2_b64 v127, v[32:33], v[36:37] offset0:102 offset1:153
	;; [unrolled: 1-line block ×7, first 2 shown]
	s_waitcnt lgkmcnt(0)
	; wave barrier
	s_waitcnt lgkmcnt(0)
	s_and_saveexec_b64 s[8:9], s[0:1]
	s_cbranch_execz .LBB0_13
; %bb.12:
	s_add_u32 s10, s12, 0x1980
	s_addc_u32 s11, s13, 0
	global_load_dwordx2 v[113:114], v126, s[10:11]
	global_load_dwordx2 v[158:159], v126, s[10:11] offset:384
	global_load_dwordx2 v[160:161], v126, s[10:11] offset:768
	;; [unrolled: 1-line block ×10, first 2 shown]
	v_mov_b32_e32 v115, s11
	v_add_co_u32_e32 v116, vcc, s10, v126
	v_addc_co_u32_e32 v117, vcc, 0, v115, vcc
	v_add_co_u32_e32 v115, vcc, s16, v116
	v_addc_co_u32_e32 v116, vcc, 0, v117, vcc
	global_load_dwordx2 v[178:179], v[115:116], off offset:128
	v_or_b32_e32 v117, 0x1200, v126
	global_load_dwordx2 v[180:181], v117, s[10:11]
	global_load_dwordx2 v[182:183], v[115:116], off offset:896
	global_load_dwordx2 v[184:185], v[115:116], off offset:1280
	;; [unrolled: 1-line block ×3, first 2 shown]
	v_or_b32_e32 v115, 0x1800, v126
	global_load_dwordx2 v[188:189], v115, s[10:11]
	ds_read_b64 v[117:118], v127
	v_add_u32_e32 v192, 0x400, v126
	v_add_u32_e32 v193, 0x800, v126
	v_add_u32_e32 v194, 0x1000, v126
	s_waitcnt vmcnt(16) lgkmcnt(0)
	v_mul_f32_e32 v116, v118, v114
	v_mul_f32_e32 v115, v117, v114
	v_fma_f32 v114, v117, v113, -v116
	v_fmac_f32_e32 v115, v118, v113
	ds_write_b64 v127, v[114:115]
	ds_read2_b64 v[113:116], v126 offset0:48 offset1:96
	ds_read2_b64 v[117:120], v126 offset0:144 offset1:192
	;; [unrolled: 1-line block ×6, first 2 shown]
	s_waitcnt vmcnt(15) lgkmcnt(5)
	v_mul_f32_e32 v190, v114, v159
	v_mul_f32_e32 v191, v113, v159
	s_waitcnt vmcnt(14)
	v_mul_f32_e32 v195, v116, v161
	v_mul_f32_e32 v159, v115, v161
	s_waitcnt vmcnt(13) lgkmcnt(4)
	v_mul_f32_e32 v196, v118, v163
	v_mul_f32_e32 v161, v117, v163
	s_waitcnt vmcnt(12)
	v_mul_f32_e32 v197, v120, v165
	v_mul_f32_e32 v163, v119, v165
	;; [unrolled: 6-line block ×5, first 2 shown]
	v_fma_f32 v190, v113, v158, -v190
	v_fmac_f32_e32 v191, v114, v158
	v_fma_f32 v158, v115, v160, -v195
	v_fmac_f32_e32 v159, v116, v160
	;; [unrolled: 2-line block ×10, first 2 shown]
	ds_write2_b64 v126, v[190:191], v[158:159] offset0:48 offset1:96
	ds_write2_b64 v126, v[160:161], v[162:163] offset0:144 offset1:192
	;; [unrolled: 1-line block ×5, first 2 shown]
	ds_read2_b64 v[113:116], v194 offset0:112 offset1:160
	s_waitcnt vmcnt(5) lgkmcnt(6)
	v_mul_f32_e32 v204, v155, v179
	v_mul_f32_e32 v177, v154, v179
	s_waitcnt vmcnt(4)
	v_mul_f32_e32 v117, v157, v181
	v_mul_f32_e32 v118, v156, v181
	v_fma_f32 v176, v154, v178, -v204
	v_fmac_f32_e32 v177, v155, v178
	v_fma_f32 v117, v156, v180, -v117
	v_fmac_f32_e32 v118, v157, v180
	ds_write2_b64 v194, v[176:177], v[117:118] offset0:16 offset1:64
	s_waitcnt vmcnt(3) lgkmcnt(1)
	v_mul_f32_e32 v117, v114, v183
	v_add_u32_e32 v123, 0x1400, v126
	v_fma_f32 v121, v113, v182, -v117
	ds_read2_b64 v[117:120], v123 offset0:80 offset1:128
	v_mul_f32_e32 v122, v113, v183
	v_fmac_f32_e32 v122, v114, v182
	s_waitcnt vmcnt(2)
	v_mul_f32_e32 v113, v116, v185
	v_mul_f32_e32 v114, v115, v185
	v_fma_f32 v113, v115, v184, -v113
	v_fmac_f32_e32 v114, v116, v184
	ds_write2_b64 v194, v[121:122], v[113:114] offset0:112 offset1:160
	s_waitcnt vmcnt(1) lgkmcnt(1)
	v_mul_f32_e32 v113, v118, v187
	v_mul_f32_e32 v114, v117, v187
	s_waitcnt vmcnt(0)
	v_mul_f32_e32 v115, v120, v189
	v_mul_f32_e32 v116, v119, v189
	v_fma_f32 v113, v117, v186, -v113
	v_fmac_f32_e32 v114, v118, v186
	v_fma_f32 v115, v119, v188, -v115
	v_fmac_f32_e32 v116, v120, v188
	ds_write2_b64 v123, v[113:114], v[115:116] offset0:80 offset1:128
.LBB0_13:
	s_or_b64 exec, exec, s[8:9]
	s_waitcnt lgkmcnt(0)
	; wave barrier
	s_waitcnt lgkmcnt(0)
	s_and_saveexec_b64 s[8:9], s[0:1]
	s_cbranch_execz .LBB0_15
; %bb.14:
	v_add_u32_e32 v40, 0x800, v127
	v_add_u32_e32 v44, 0xc00, v127
	;; [unrolled: 1-line block ×3, first 2 shown]
	ds_read2_b64 v[24:27], v127 offset1:48
	ds_read2_b64 v[28:31], v127 offset0:96 offset1:144
	ds_read2_b64 v[32:35], v127 offset0:192 offset1:240
	;; [unrolled: 1-line block ×7, first 2 shown]
	ds_read_b64 v[111:112], v127 offset:6144
.LBB0_15:
	s_or_b64 exec, exec, s[8:9]
	s_waitcnt lgkmcnt(0)
	v_sub_f32_e32 v170, v27, v112
	v_add_f32_e32 v146, v111, v26
	v_add_f32_e32 v180, v112, v27
	s_mov_b32 s10, 0x3f6eb680
	v_mul_f32_e32 v194, 0xbeb8f4ab, v170
	v_sub_f32_e32 v173, v29, v55
	v_mul_f32_e32 v164, 0x3f6eb680, v180
	v_fma_f32 v113, v146, s10, -v194
	v_add_f32_e32 v147, v54, v28
	v_add_f32_e32 v183, v55, v29
	s_mov_b32 s11, 0x3f3d2fb0
	v_mul_f32_e32 v163, 0xbf2c7751, v173
	v_sub_f32_e32 v149, v26, v111
	v_add_f32_e32 v113, v24, v113
	v_mov_b32_e32 v114, v164
	v_mul_f32_e32 v166, 0x3f3d2fb0, v183
	v_fma_f32 v115, v147, s11, -v163
	v_fmac_f32_e32 v114, 0xbeb8f4ab, v149
	v_sub_f32_e32 v151, v28, v54
	v_add_f32_e32 v113, v115, v113
	v_mov_b32_e32 v115, v166
	v_sub_f32_e32 v176, v31, v53
	v_add_f32_e32 v114, v25, v114
	v_fmac_f32_e32 v115, 0xbf2c7751, v151
	v_add_f32_e32 v148, v52, v30
	v_add_f32_e32 v186, v53, v31
	s_mov_b32 s16, 0x3ee437d1
	v_mul_f32_e32 v165, 0xbf65296c, v176
	v_add_f32_e32 v114, v115, v114
	v_mul_f32_e32 v168, 0x3ee437d1, v186
	v_fma_f32 v115, v148, s16, -v165
	v_sub_f32_e32 v153, v30, v52
	v_add_f32_e32 v113, v115, v113
	v_mov_b32_e32 v115, v168
	v_sub_f32_e32 v178, v33, v51
	v_fmac_f32_e32 v115, 0xbf65296c, v153
	v_add_f32_e32 v150, v50, v32
	v_add_f32_e32 v191, v51, v33
	s_mov_b32 s17, 0x3dbcf732
	v_mul_f32_e32 v167, 0xbf7ee86f, v178
	v_add_f32_e32 v114, v115, v114
	v_mul_f32_e32 v171, 0x3dbcf732, v191
	v_fma_f32 v115, v150, s17, -v167
	v_sub_f32_e32 v155, v32, v50
	v_add_f32_e32 v113, v115, v113
	v_mov_b32_e32 v115, v171
	v_sub_f32_e32 v182, v35, v49
	;; [unrolled: 12-line block ×5, first 2 shown]
	v_fmac_f32_e32 v115, 0xbf06c442, v160
	v_add_f32_e32 v159, v42, v40
	v_add_f32_e32 v209, v43, v41
	s_mov_b32 s21, 0xbf7ba420
	v_mul_f32_e32 v179, 0xbe3c28d5, v197
	v_add_f32_e32 v114, v115, v114
	v_mul_f32_e32 v185, 0xbf7ba420, v209
	v_fma_f32 v115, v159, s21, -v179
	v_sub_f32_e32 v161, v40, v42
	v_add_f32_e32 v113, v115, v113
	v_mov_b32_e32 v115, v185
	v_fmac_f32_e32 v115, 0xbe3c28d5, v161
	v_add_f32_e32 v114, v115, v114
	s_waitcnt lgkmcnt(0)
	; wave barrier
	s_and_saveexec_b64 s[8:9], s[0:1]
	s_cbranch_execz .LBB0_17
; %bb.16:
	v_mul_f32_e32 v216, 0xbf65296c, v149
	v_mov_b32_e32 v115, v216
	v_mul_f32_e32 v217, 0xbf4c4adb, v151
	v_fmac_f32_e32 v115, 0x3ee437d1, v180
	v_mov_b32_e32 v116, v217
	v_add_f32_e32 v115, v25, v115
	v_fmac_f32_e32 v116, 0xbf1a4643, v183
	v_mul_f32_e32 v218, 0x3e3c28d5, v153
	v_add_f32_e32 v115, v116, v115
	v_mov_b32_e32 v116, v218
	v_fmac_f32_e32 v116, 0xbf7ba420, v186
	v_mul_f32_e32 v219, 0x3f763a35, v155
	v_add_f32_e32 v115, v116, v115
	v_mov_b32_e32 v116, v219
	;; [unrolled: 4-line block ×6, first 2 shown]
	v_fmac_f32_e32 v116, 0xbf59a7d5, v209
	v_mul_f32_e32 v224, 0xbf65296c, v170
	v_add_f32_e32 v204, v116, v115
	v_fma_f32 v115, v146, s16, -v224
	v_mul_f32_e32 v225, 0xbf4c4adb, v173
	v_add_f32_e32 v115, v24, v115
	v_fma_f32 v117, v147, s19, -v225
	;; [unrolled: 3-line block ×8, first 2 shown]
	v_mul_f32_e32 v212, 0xbf763a35, v149
	v_add_f32_e32 v203, v117, v115
	v_mov_b32_e32 v117, v212
	v_mul_f32_e32 v213, 0x3f06c442, v151
	v_fmac_f32_e32 v117, 0xbe8c1d8e, v180
	v_mov_b32_e32 v118, v213
	v_add_f32_e32 v117, v25, v117
	v_fmac_f32_e32 v118, 0xbf59a7d5, v183
	v_mul_f32_e32 v214, 0x3f2c7751, v153
	v_add_f32_e32 v117, v118, v117
	v_mov_b32_e32 v118, v214
	v_fmac_f32_e32 v118, 0x3f3d2fb0, v186
	v_mul_f32_e32 v215, 0xbf65296c, v155
	v_add_f32_e32 v117, v118, v117
	v_mov_b32_e32 v118, v215
	;; [unrolled: 4-line block ×6, first 2 shown]
	v_fmac_f32_e32 v118, 0xbf1a4643, v209
	v_mul_f32_e32 v236, 0xbf763a35, v170
	v_add_f32_e32 v189, v118, v117
	v_fma_f32 v117, v146, s18, -v236
	v_mul_f32_e32 v237, 0x3f06c442, v173
	v_add_f32_e32 v117, v24, v117
	v_fma_f32 v119, v147, s20, -v237
	;; [unrolled: 3-line block ×8, first 2 shown]
	v_mul_f32_e32 v123, 0xbf06c442, v149
	v_add_f32_e32 v188, v119, v117
	v_mov_b32_e32 v119, v123
	v_mul_f32_e32 v124, 0x3f65296c, v151
	v_fmac_f32_e32 v119, 0xbf59a7d5, v180
	v_mov_b32_e32 v120, v124
	v_add_f32_e32 v119, v25, v119
	v_fmac_f32_e32 v120, 0x3ee437d1, v183
	v_mul_f32_e32 v210, 0xbf7ee86f, v153
	v_add_f32_e32 v119, v120, v119
	v_mov_b32_e32 v120, v210
	v_fmac_f32_e32 v120, 0x3dbcf732, v186
	v_mul_f32_e32 v211, 0x3f4c4adb, v155
	v_add_f32_e32 v119, v120, v119
	v_mov_b32_e32 v120, v211
	;; [unrolled: 4-line block ×6, first 2 shown]
	v_fmac_f32_e32 v120, 0xbe8c1d8e, v209
	v_mul_f32_e32 v248, 0xbf06c442, v170
	v_add_f32_e32 v120, v120, v119
	v_fma_f32 v119, v146, s20, -v248
	v_mul_f32_e32 v249, 0x3f65296c, v173
	v_add_f32_e32 v119, v24, v119
	v_fma_f32 v121, v147, s16, -v249
	;; [unrolled: 3-line block ×8, first 2 shown]
	buffer_store_dword v128, off, s[24:27], 0 offset:4 ; 4-byte Folded Spill
	v_mul_f32_e32 v128, 0xbf7ba420, v180
	v_add_f32_e32 v119, v121, v119
	v_mov_b32_e32 v121, v128
	buffer_store_dword v129, off, s[24:27], 0 offset:8 ; 4-byte Folded Spill
	v_mul_f32_e32 v129, 0x3f6eb680, v183
	v_fmac_f32_e32 v121, 0x3e3c28d5, v149
	v_mov_b32_e32 v122, v129
	v_add_f32_e32 v121, v25, v121
	v_fmac_f32_e32 v122, 0xbeb8f4ab, v151
	buffer_store_dword v130, off, s[24:27], 0 offset:12 ; 4-byte Folded Spill
	v_mul_f32_e32 v130, 0xbf59a7d5, v186
	v_add_f32_e32 v121, v122, v121
	v_mov_b32_e32 v122, v130
	v_fmac_f32_e32 v122, 0x3f06c442, v153
	buffer_store_dword v131, off, s[24:27], 0 offset:16 ; 4-byte Folded Spill
	v_mul_f32_e32 v131, 0x3f3d2fb0, v191
	v_add_f32_e32 v121, v122, v121
	v_mov_b32_e32 v122, v131
	;; [unrolled: 5-line block ×6, first 2 shown]
	v_fmac_f32_e32 v122, 0xbf7ee86f, v161
	v_mov_b32_e32 v202, v140
	v_mul_f32_e32 v140, 0xbe3c28d5, v170
	v_add_f32_e32 v122, v122, v121
	v_mov_b32_e32 v121, v140
	v_mov_b32_e32 v201, v137
	v_mul_f32_e32 v137, 0x3eb8f4ab, v173
	v_fmac_f32_e32 v121, 0xbf7ba420, v146
	buffer_store_dword v136, off, s[24:27], 0 ; 4-byte Folded Spill
	v_mov_b32_e32 v136, v137
	v_add_f32_e32 v121, v24, v121
	v_fmac_f32_e32 v136, 0x3f6eb680, v147
	v_mov_b32_e32 v200, v138
	v_mul_f32_e32 v138, 0xbf06c442, v176
	v_add_f32_e32 v121, v136, v121
	v_mov_b32_e32 v136, v138
	v_fmac_f32_e32 v136, 0xbf59a7d5, v148
	v_mov_b32_e32 v196, v139
	v_mul_f32_e32 v139, 0x3f2c7751, v178
	v_add_f32_e32 v121, v136, v121
	v_mov_b32_e32 v136, v139
	v_fmac_f32_e32 v136, 0x3f3d2fb0, v150
	v_mul_f32_e32 v117, 0xbf4c4adb, v182
	v_add_f32_e32 v121, v136, v121
	v_mov_b32_e32 v136, v117
	v_fmac_f32_e32 v136, 0xbf1a4643, v152
	v_mov_b32_e32 v195, v141
	v_mul_f32_e32 v141, 0x3f65296c, v184
	v_add_f32_e32 v121, v136, v121
	v_mov_b32_e32 v136, v141
	v_fmac_f32_e32 v136, 0x3ee437d1, v154
	v_mul_f32_e32 v206, 0xbf763a35, v187
	v_add_f32_e32 v121, v136, v121
	v_mov_b32_e32 v136, v206
	v_fmac_f32_e32 v136, 0xbe8c1d8e, v156
	v_mul_f32_e32 v115, 0x3f7ee86f, v197
	v_fma_f32 v123, v180, s20, -v123
	v_add_f32_e32 v121, v136, v121
	v_mov_b32_e32 v136, v115
	v_add_f32_e32 v123, v25, v123
	v_fma_f32 v124, v183, s16, -v124
	v_fmac_f32_e32 v136, 0x3dbcf732, v159
	v_add_f32_e32 v123, v124, v123
	v_fma_f32 v124, v186, s17, -v210
	v_add_f32_e32 v121, v136, v121
	v_add_f32_e32 v123, v124, v123
	v_fma_f32 v124, v191, s19, -v211
	v_mul_f32_e32 v136, 0xbf1a4643, v180
	v_add_f32_e32 v123, v124, v123
	v_fma_f32 v124, v198, s10, -v244
	v_mov_b32_e32 v210, v136
	v_mul_f32_e32 v244, 0xbe8c1d8e, v183
	v_fmac_f32_e32 v210, 0x3f4c4adb, v149
	v_mov_b32_e32 v211, v244
	v_add_f32_e32 v123, v124, v123
	v_fma_f32 v124, v199, s21, -v245
	v_add_f32_e32 v210, v25, v210
	v_fmac_f32_e32 v211, 0xbf763a35, v151
	v_mul_f32_e32 v245, 0x3f6eb680, v186
	v_add_f32_e32 v210, v211, v210
	v_mov_b32_e32 v211, v245
	v_add_f32_e32 v123, v124, v123
	v_fma_f32 v124, v208, s11, -v246
	v_fmac_f32_e32 v211, 0x3eb8f4ab, v153
	v_mul_f32_e32 v246, 0xbf59a7d5, v191
	v_add_f32_e32 v210, v211, v210
	v_mov_b32_e32 v211, v246
	v_fma_f32 v212, v180, s18, -v212
	v_add_f32_e32 v123, v124, v123
	v_fma_f32 v124, v209, s18, -v247
	v_fmac_f32_e32 v211, 0x3f06c442, v155
	v_mul_f32_e32 v247, 0x3dbcf732, v198
	v_add_f32_e32 v212, v25, v212
	v_fma_f32 v213, v183, s20, -v213
	v_fmac_f32_e32 v248, 0xbf59a7d5, v146
	v_add_f32_e32 v210, v211, v210
	v_mov_b32_e32 v211, v247
	v_add_f32_e32 v212, v213, v212
	v_fma_f32 v213, v186, s11, -v214
	v_add_f32_e32 v124, v124, v123
	v_add_f32_e32 v123, v24, v248
	v_fmac_f32_e32 v211, 0xbf7ee86f, v157
	v_mul_f32_e32 v248, 0x3f3d2fb0, v199
	v_add_f32_e32 v212, v213, v212
	v_fma_f32 v213, v191, s16, -v215
	v_fmac_f32_e32 v249, 0x3ee437d1, v147
	v_add_f32_e32 v210, v211, v210
	v_mov_b32_e32 v211, v248
	v_add_f32_e32 v212, v213, v212
	v_fma_f32 v213, v198, s21, -v232
	v_mul_f32_e32 v232, 0x3dbcf732, v180
	v_add_f32_e32 v123, v249, v123
	v_fmac_f32_e32 v211, 0x3f2c7751, v158
	v_mul_f32_e32 v249, 0xbf7ba420, v208
	v_add_f32_e32 v212, v213, v212
	v_fma_f32 v213, v199, s17, -v233
	v_mov_b32_e32 v214, v232
	v_mul_f32_e32 v233, 0xbf7ba420, v183
	v_fmac_f32_e32 v250, 0x3dbcf732, v148
	v_add_f32_e32 v210, v211, v210
	v_mov_b32_e32 v211, v249
	v_fmac_f32_e32 v214, 0x3f7ee86f, v149
	v_mov_b32_e32 v215, v233
	v_add_f32_e32 v123, v250, v123
	v_fmac_f32_e32 v211, 0x3e3c28d5, v160
	v_mul_f32_e32 v250, 0x3ee437d1, v209
	v_add_f32_e32 v212, v213, v212
	v_fma_f32 v213, v208, s10, -v234
	v_add_f32_e32 v214, v25, v214
	v_fmac_f32_e32 v215, 0x3e3c28d5, v151
	v_mul_f32_e32 v234, 0xbe8c1d8e, v186
	v_fmac_f32_e32 v251, 0xbf1a4643, v150
	v_add_f32_e32 v210, v211, v210
	v_mov_b32_e32 v211, v250
	v_add_f32_e32 v214, v215, v214
	v_mov_b32_e32 v215, v234
	v_add_f32_e32 v123, v251, v123
	v_fmac_f32_e32 v252, 0x3f6eb680, v152
	v_fmac_f32_e32 v211, 0xbf65296c, v161
	v_mul_f32_e32 v251, 0xbf4c4adb, v170
	v_add_f32_e32 v212, v213, v212
	v_fma_f32 v213, v209, s19, -v235
	v_fmac_f32_e32 v215, 0xbf763a35, v153
	v_mul_f32_e32 v235, 0x3f6eb680, v191
	v_add_f32_e32 v123, v252, v123
	v_fmac_f32_e32 v253, 0xbf7ba420, v154
	v_add_f32_e32 v211, v211, v210
	v_mov_b32_e32 v210, v251
	v_mul_f32_e32 v252, 0x3f763a35, v173
	v_fmac_f32_e32 v236, 0xbe8c1d8e, v146
	v_add_f32_e32 v214, v215, v214
	v_mov_b32_e32 v215, v235
	v_add_f32_e32 v123, v253, v123
	v_fmac_f32_e32 v210, 0xbf1a4643, v146
	v_mov_b32_e32 v253, v252
	v_add_f32_e32 v213, v213, v212
	v_add_f32_e32 v212, v24, v236
	v_fmac_f32_e32 v215, 0xbeb8f4ab, v155
	v_mul_f32_e32 v236, 0x3ee437d1, v198
	v_add_f32_e32 v210, v24, v210
	v_fmac_f32_e32 v253, 0xbe8c1d8e, v147
	v_fmac_f32_e32 v237, 0xbf59a7d5, v147
	v_add_f32_e32 v214, v215, v214
	v_mov_b32_e32 v215, v236
	v_fmac_f32_e32 v254, 0x3f3d2fb0, v156
	v_add_f32_e32 v210, v253, v210
	v_mul_f32_e32 v253, 0xbeb8f4ab, v176
	v_add_f32_e32 v212, v237, v212
	v_fmac_f32_e32 v215, 0x3f65296c, v157
	v_mul_f32_e32 v237, 0xbf59a7d5, v199
	v_add_f32_e32 v123, v254, v123
	v_mov_b32_e32 v254, v253
	v_fmac_f32_e32 v238, 0x3f3d2fb0, v148
	v_add_f32_e32 v214, v215, v214
	v_mov_b32_e32 v215, v237
	v_fmac_f32_e32 v254, 0x3f6eb680, v148
	v_add_f32_e32 v212, v238, v212
	v_fmac_f32_e32 v215, 0x3f06c442, v158
	v_mul_f32_e32 v238, 0xbf1a4643, v208
	v_fmac_f32_e32 v255, 0xbe8c1d8e, v159
	v_add_f32_e32 v210, v254, v210
	v_mul_f32_e32 v254, 0xbf06c442, v178
	v_fmac_f32_e32 v239, 0x3ee437d1, v150
	v_add_f32_e32 v214, v215, v214
	v_mov_b32_e32 v215, v238
	v_add_f32_e32 v123, v255, v123
	v_mov_b32_e32 v255, v254
	v_add_f32_e32 v212, v239, v212
	v_fmac_f32_e32 v215, 0xbf4c4adb, v160
	v_mul_f32_e32 v239, 0x3f3d2fb0, v209
	v_fmac_f32_e32 v255, 0xbf59a7d5, v150
	v_mul_f32_e32 v207, 0x3f7ee86f, v182
	v_fmac_f32_e32 v240, 0xbf7ba420, v152
	v_add_f32_e32 v214, v215, v214
	v_mov_b32_e32 v215, v239
	v_add_f32_e32 v210, v255, v210
	v_mov_b32_e32 v255, v207
	v_add_f32_e32 v212, v240, v212
	v_fmac_f32_e32 v241, 0x3dbcf732, v154
	v_fmac_f32_e32 v215, 0xbf2c7751, v161
	v_mul_f32_e32 v240, 0xbf7ee86f, v170
	v_fmac_f32_e32 v255, 0x3dbcf732, v152
	v_mov_b32_e32 v193, v142
	v_mul_f32_e32 v142, 0xbf2c7751, v184
	v_add_f32_e32 v212, v241, v212
	v_fmac_f32_e32 v242, 0x3f6eb680, v156
	v_add_f32_e32 v215, v215, v214
	v_mov_b32_e32 v214, v240
	v_mul_f32_e32 v241, 0xbe3c28d5, v173
	v_add_f32_e32 v26, v26, v24
	v_fmac_f32_e32 v128, 0xbe3c28d5, v149
	v_add_f32_e32 v210, v255, v210
	v_mov_b32_e32 v255, v142
	v_add_f32_e32 v212, v242, v212
	v_fmac_f32_e32 v214, 0x3dbcf732, v146
	v_mov_b32_e32 v242, v241
	v_add_f32_e32 v26, v28, v26
	v_add_f32_e32 v28, v25, v128
	v_fmac_f32_e32 v129, 0x3eb8f4ab, v151
	v_fmac_f32_e32 v255, 0x3f3d2fb0, v154
	v_mov_b32_e32 v192, v143
	v_mul_f32_e32 v143, 0xbe3c28d5, v187
	v_add_f32_e32 v214, v24, v214
	v_fmac_f32_e32 v242, 0xbf7ba420, v147
	v_add_f32_e32 v28, v129, v28
	v_fmac_f32_e32 v130, 0xbf06c442, v153
	v_add_f32_e32 v210, v255, v210
	v_mov_b32_e32 v255, v143
	v_fmac_f32_e32 v243, 0xbf1a4643, v159
	v_add_f32_e32 v214, v242, v214
	v_mul_f32_e32 v242, 0x3f763a35, v176
	v_add_f32_e32 v28, v130, v28
	v_fmac_f32_e32 v131, 0x3f2c7751, v155
	v_fmac_f32_e32 v255, 0xbf7ba420, v156
	v_mov_b32_e32 v190, v144
	v_mul_f32_e32 v144, 0x3f65296c, v197
	v_add_f32_e32 v212, v243, v212
	v_mov_b32_e32 v243, v242
	v_add_f32_e32 v28, v131, v28
	v_fmac_f32_e32 v132, 0xbf4c4adb, v157
	v_add_f32_e32 v210, v255, v210
	v_mov_b32_e32 v255, v144
	v_fmac_f32_e32 v243, 0xbe8c1d8e, v148
	v_add_f32_e32 v28, v132, v28
	v_fmac_f32_e32 v133, 0x3f65296c, v158
	v_fmac_f32_e32 v255, 0x3ee437d1, v159
	v_add_f32_e32 v214, v243, v214
	v_mul_f32_e32 v243, 0x3eb8f4ab, v178
	v_add_f32_e32 v28, v133, v28
	v_fmac_f32_e32 v134, 0xbf763a35, v160
	v_add_f32_e32 v210, v255, v210
	v_mov_b32_e32 v255, v243
	v_add_f32_e32 v27, v27, v25
	v_add_f32_e32 v28, v134, v28
	v_fmac_f32_e32 v135, 0x3f7ee86f, v161
	v_fmac_f32_e32 v255, 0x3f6eb680, v150
	v_mov_b32_e32 v118, v145
	v_mul_f32_e32 v145, 0xbf65296c, v182
	v_add_f32_e32 v27, v29, v27
	v_add_f32_e32 v29, v135, v28
	v_fma_f32 v28, v146, s21, -v140
	v_add_f32_e32 v214, v255, v214
	v_mov_b32_e32 v255, v145
	v_add_f32_e32 v26, v30, v26
	v_add_f32_e32 v28, v24, v28
	v_fma_f32 v30, v147, s10, -v137
	v_fmac_f32_e32 v255, 0x3ee437d1, v152
	v_mul_f32_e32 v56, 0xbf06c442, v184
	v_add_f32_e32 v28, v30, v28
	v_fma_f32 v30, v148, s20, -v138
	v_add_f32_e32 v214, v255, v214
	v_mov_b32_e32 v255, v56
	v_add_f32_e32 v28, v30, v28
	v_fma_f32 v30, v150, s11, -v139
	v_fmac_f32_e32 v255, 0xbf59a7d5, v154
	v_add_f32_e32 v28, v30, v28
	v_fma_f32 v30, v152, s19, -v117
	v_add_f32_e32 v116, v255, v214
	v_mul_f32_e32 v255, 0x3f4c4adb, v187
	v_add_f32_e32 v28, v30, v28
	v_fma_f32 v30, v154, s16, -v141
	v_mov_b32_e32 v214, v255
	v_add_f32_e32 v28, v30, v28
	v_fma_f32 v30, v156, s18, -v206
	v_fmac_f32_e32 v214, 0xbf1a4643, v156
	v_mul_f32_e32 v162, 0x3f2c7751, v197
	v_add_f32_e32 v28, v30, v28
	v_fma_f32 v30, v159, s17, -v115
	v_fmac_f32_e32 v136, 0xbf4c4adb, v149
	v_add_f32_e32 v116, v214, v116
	v_mov_b32_e32 v214, v162
	buffer_load_dword v128, off, s[24:27], 0 offset:4 ; 4-byte Folded Reload
	buffer_load_dword v129, off, s[24:27], 0 offset:8 ; 4-byte Folded Reload
	buffer_load_dword v130, off, s[24:27], 0 offset:12 ; 4-byte Folded Reload
	buffer_load_dword v131, off, s[24:27], 0 offset:16 ; 4-byte Folded Reload
	buffer_load_dword v132, off, s[24:27], 0 offset:20 ; 4-byte Folded Reload
	buffer_load_dword v133, off, s[24:27], 0 offset:24 ; 4-byte Folded Reload
	buffer_load_dword v135, off, s[24:27], 0 offset:28 ; 4-byte Folded Reload
	buffer_load_dword v134, off, s[24:27], 0 offset:32 ; 4-byte Folded Reload
	v_add_f32_e32 v28, v30, v28
	v_add_f32_e32 v30, v25, v136
	buffer_load_dword v136, off, s[24:27], 0 ; 4-byte Folded Reload
	v_fmac_f32_e32 v214, 0x3f3d2fb0, v159
	v_add_f32_e32 v214, v214, v116
	v_fma_f32 v116, v180, s16, -v216
	v_add_f32_e32 v116, v25, v116
	v_fma_f32 v216, v183, s19, -v217
	v_add_f32_e32 v116, v216, v116
	v_fma_f32 v216, v186, s21, -v218
	v_add_f32_e32 v116, v216, v116
	v_fma_f32 v216, v191, s18, -v219
	v_add_f32_e32 v116, v216, v116
	v_fma_f32 v216, v198, s11, -v220
	v_add_f32_e32 v116, v216, v116
	v_fma_f32 v216, v199, s10, -v221
	v_add_f32_e32 v116, v216, v116
	v_fma_f32 v216, v208, s17, -v222
	v_add_f32_e32 v116, v216, v116
	v_fma_f32 v216, v209, s20, -v223
	v_fmac_f32_e32 v224, 0x3ee437d1, v146
	v_add_f32_e32 v217, v216, v116
	v_add_f32_e32 v116, v24, v224
	v_fmac_f32_e32 v225, 0xbf1a4643, v147
	v_add_f32_e32 v116, v225, v116
	v_fmac_f32_e32 v226, 0xbf7ba420, v148
	;; [unrolled: 2-line block ×7, first 2 shown]
	v_add_f32_e32 v216, v231, v116
	v_mul_f32_e32 v116, 0x3f3d2fb0, v180
	v_mov_b32_e32 v180, v116
	v_mul_f32_e32 v218, 0x3dbcf732, v183
	v_fmac_f32_e32 v180, 0x3f2c7751, v149
	v_mov_b32_e32 v183, v218
	v_add_f32_e32 v180, v25, v180
	v_fmac_f32_e32 v183, 0x3f7ee86f, v151
	v_mul_f32_e32 v186, 0xbf1a4643, v186
	v_add_f32_e32 v180, v183, v180
	v_mov_b32_e32 v183, v186
	v_fmac_f32_e32 v183, 0x3f4c4adb, v153
	v_mul_f32_e32 v191, 0xbf7ba420, v191
	v_add_f32_e32 v180, v183, v180
	v_mov_b32_e32 v183, v191
	;; [unrolled: 4-line block ×7, first 2 shown]
	v_mul_f32_e32 v173, 0xbf7ee86f, v173
	v_fmac_f32_e32 v180, 0x3f3d2fb0, v146
	v_mov_b32_e32 v219, v173
	v_add_f32_e32 v180, v24, v180
	v_fmac_f32_e32 v219, 0x3dbcf732, v147
	v_mul_f32_e32 v176, 0xbf4c4adb, v176
	v_add_f32_e32 v180, v219, v180
	v_mov_b32_e32 v219, v176
	v_fmac_f32_e32 v219, 0xbf1a4643, v148
	v_mul_f32_e32 v178, 0xbe3c28d5, v178
	v_add_f32_e32 v180, v219, v180
	v_mov_b32_e32 v219, v178
	v_fmac_f32_e32 v219, 0xbf7ba420, v150
	v_add_f32_e32 v180, v219, v180
	v_mul_f32_e32 v219, 0x3f06c442, v182
	v_fmac_f32_e32 v244, 0x3f763a35, v151
	v_mov_b32_e32 v182, v219
	v_add_f32_e32 v30, v244, v30
	v_fmac_f32_e32 v245, 0xbeb8f4ab, v153
	v_fmac_f32_e32 v182, 0xbf59a7d5, v152
	v_mul_f32_e32 v184, 0x3f763a35, v184
	v_add_f32_e32 v30, v245, v30
	v_fmac_f32_e32 v246, 0xbf06c442, v155
	v_add_f32_e32 v180, v182, v180
	v_mov_b32_e32 v182, v184
	v_add_f32_e32 v30, v246, v30
	v_fmac_f32_e32 v247, 0x3f7ee86f, v157
	v_fmac_f32_e32 v182, 0xbe8c1d8e, v154
	v_mul_f32_e32 v187, 0x3f65296c, v187
	v_add_f32_e32 v30, v247, v30
	v_fmac_f32_e32 v248, 0xbf2c7751, v158
	v_add_f32_e32 v180, v182, v180
	;; [unrolled: 8-line block ×3, first 2 shown]
	v_mov_b32_e32 v182, v197
	v_add_f32_e32 v27, v31, v27
	v_add_f32_e32 v31, v250, v30
	v_fma_f32 v30, v146, s19, -v251
	v_fmac_f32_e32 v182, 0x3f6eb680, v159
	v_add_f32_e32 v26, v32, v26
	v_add_f32_e32 v30, v24, v30
	v_fma_f32 v32, v147, s18, -v252
	v_add_f32_e32 v182, v182, v180
	v_mul_f32_e32 v180, 0xbeb8f4ab, v149
	v_add_f32_e32 v30, v32, v30
	v_fma_f32 v32, v148, s10, -v253
	v_sub_f32_e32 v164, v164, v180
	v_mul_f32_e32 v180, 0xbf2c7751, v151
	v_add_f32_e32 v30, v32, v30
	v_fma_f32 v32, v150, s20, -v254
	v_add_f32_e32 v164, v25, v164
	v_sub_f32_e32 v166, v166, v180
	v_add_f32_e32 v30, v32, v30
	v_fma_f32 v32, v152, s17, -v207
	v_add_f32_e32 v164, v166, v164
	v_mul_f32_e32 v166, 0xbf65296c, v153
	v_add_f32_e32 v30, v32, v30
	v_fma_f32 v32, v154, s11, -v142
	v_sub_f32_e32 v166, v168, v166
	v_add_f32_e32 v30, v32, v30
	v_fma_f32 v32, v156, s21, -v143
	v_add_f32_e32 v164, v166, v164
	v_mul_f32_e32 v166, 0xbf7ee86f, v155
	v_add_f32_e32 v30, v32, v30
	v_fma_f32 v32, v159, s16, -v144
	v_fmac_f32_e32 v232, 0xbf7ee86f, v149
	v_sub_f32_e32 v166, v171, v166
	v_add_f32_e32 v30, v32, v30
	v_add_f32_e32 v32, v25, v232
	v_fmac_f32_e32 v233, 0xbe3c28d5, v151
	v_add_f32_e32 v164, v166, v164
	v_mul_f32_e32 v166, 0xbf763a35, v157
	v_add_f32_e32 v32, v233, v32
	v_fmac_f32_e32 v234, 0x3f763a35, v153
	v_sub_f32_e32 v166, v174, v166
	v_add_f32_e32 v32, v234, v32
	v_fmac_f32_e32 v235, 0x3eb8f4ab, v155
	v_add_f32_e32 v164, v166, v164
	v_mul_f32_e32 v166, 0xbf4c4adb, v158
	v_add_f32_e32 v32, v235, v32
	v_fmac_f32_e32 v236, 0xbf65296c, v157
	v_sub_f32_e32 v166, v177, v166
	;; [unrolled: 7-line block ×3, first 2 shown]
	v_add_f32_e32 v32, v238, v32
	v_fmac_f32_e32 v239, 0x3f2c7751, v161
	v_add_f32_e32 v164, v166, v164
	v_mul_f32_e32 v166, 0xbe3c28d5, v161
	v_add_f32_e32 v27, v33, v27
	v_add_f32_e32 v33, v239, v32
	v_fma_f32 v32, v146, s17, -v240
	v_sub_f32_e32 v166, v185, v166
	v_add_f32_e32 v26, v34, v26
	v_add_f32_e32 v32, v24, v32
	v_fma_f32 v34, v147, s21, -v241
	v_add_f32_e32 v164, v166, v164
	v_mul_f32_e32 v166, 0x3f6eb680, v146
	v_add_f32_e32 v32, v34, v32
	v_fma_f32 v34, v148, s18, -v242
	v_add_f32_e32 v166, v166, v194
	v_mul_f32_e32 v168, 0x3f3d2fb0, v147
	v_add_f32_e32 v32, v34, v32
	v_fma_f32 v34, v150, s10, -v243
	v_add_f32_e32 v166, v24, v166
	v_add_f32_e32 v163, v168, v163
	;; [unrolled: 1-line block ×3, first 2 shown]
	v_fma_f32 v34, v152, s16, -v145
	v_add_f32_e32 v163, v163, v166
	v_mul_f32_e32 v166, 0x3ee437d1, v148
	v_add_f32_e32 v32, v34, v32
	v_fma_f32 v34, v154, s20, -v56
	v_add_f32_e32 v165, v166, v165
	v_add_f32_e32 v27, v35, v27
	;; [unrolled: 1-line block ×3, first 2 shown]
	v_fma_f32 v34, v156, s19, -v255
	v_add_f32_e32 v163, v165, v163
	v_mul_f32_e32 v165, 0x3dbcf732, v150
	v_add_f32_e32 v27, v37, v27
	v_add_f32_e32 v26, v36, v26
	;; [unrolled: 1-line block ×3, first 2 shown]
	v_fma_f32 v34, v159, s11, -v162
	v_add_f32_e32 v165, v165, v167
	v_add_f32_e32 v27, v39, v27
	;; [unrolled: 1-line block ×4, first 2 shown]
	v_fma_f32 v34, v146, s11, -v170
	v_add_f32_e32 v163, v165, v163
	v_mul_f32_e32 v165, 0xbe8c1d8e, v152
	v_add_f32_e32 v27, v41, v27
	v_add_f32_e32 v26, v40, v26
	;; [unrolled: 1-line block ×3, first 2 shown]
	v_fma_f32 v34, v147, s17, -v173
	v_add_f32_e32 v165, v165, v169
	v_add_f32_e32 v27, v43, v27
	v_add_f32_e32 v26, v42, v26
	v_fmac_f32_e32 v116, 0xbf2c7751, v149
	v_add_f32_e32 v24, v34, v24
	v_fma_f32 v34, v148, s19, -v176
	v_add_f32_e32 v163, v165, v163
	v_mul_f32_e32 v165, 0xbf1a4643, v154
	v_add_f32_e32 v27, v45, v27
	v_add_f32_e32 v26, v44, v26
	v_add_f32_e32 v25, v25, v116
	v_fmac_f32_e32 v218, 0xbf7ee86f, v151
	v_add_f32_e32 v24, v34, v24
	v_fma_f32 v34, v150, s21, -v178
	v_add_f32_e32 v165, v165, v172
	v_add_f32_e32 v27, v47, v27
	v_add_f32_e32 v26, v46, v26
	v_add_f32_e32 v25, v218, v25
	v_fmac_f32_e32 v186, 0xbf4c4adb, v153
	v_add_f32_e32 v24, v34, v24
	v_fma_f32 v34, v152, s20, -v219
	v_add_f32_e32 v163, v165, v163
	v_mul_f32_e32 v165, 0xbf59a7d5, v156
	v_add_f32_e32 v27, v49, v27
	v_add_f32_e32 v26, v48, v26
	v_add_f32_e32 v25, v186, v25
	v_fmac_f32_e32 v191, 0xbe3c28d5, v155
	v_add_f32_e32 v24, v34, v24
	v_fma_f32 v34, v154, s18, -v184
	v_add_f32_e32 v165, v165, v175
	;; [unrolled: 15-line block ×3, first 2 shown]
	v_add_f32_e32 v27, v55, v27
	v_add_f32_e32 v26, v54, v26
	;; [unrolled: 1-line block ×3, first 2 shown]
	v_fmac_f32_e32 v208, 0x3f65296c, v160
	v_add_f32_e32 v24, v34, v24
	v_mul_lo_u16_e32 v34, 17, v125
	v_add_f32_e32 v163, v165, v163
	v_add_f32_e32 v27, v112, v27
	;; [unrolled: 1-line block ×3, first 2 shown]
	v_mov_b32_e32 v140, v202
	v_mov_b32_e32 v137, v201
	;; [unrolled: 1-line block ×9, first 2 shown]
	v_add_f32_e32 v25, v208, v25
	v_fmac_f32_e32 v209, 0x3eb8f4ab, v161
	v_lshlrev_b32_e32 v34, 3, v34
	v_add_f32_e32 v25, v209, v25
	ds_write2_b64 v34, v[26:27], v[163:164] offset1:1
	ds_write2_b64 v34, v[182:183], v[216:217] offset0:2 offset1:3
	ds_write2_b64 v34, v[214:215], v[212:213] offset0:4 offset1:5
	;; [unrolled: 1-line block ×7, first 2 shown]
	ds_write_b64 v34, v[113:114] offset:128
.LBB0_17:
	s_or_b64 exec, exec, s[8:9]
	v_add_u32_e32 v56, 0x800, v127
	s_waitcnt lgkmcnt(0)
	; wave barrier
	s_waitcnt lgkmcnt(0)
	ds_read2_b64 v[24:27], v127 offset1:51
	ds_read2_b64 v[28:31], v56 offset0:152 offset1:203
	ds_read2_b64 v[32:35], v127 offset0:102 offset1:153
	v_add_u32_e32 v36, 0xc00, v127
	ds_read2_b64 v[36:39], v36 offset0:126 offset1:177
	ds_read2_b64 v[40:43], v127 offset0:204 offset1:255
	v_add_u32_e32 v111, 0x1000, v127
	s_waitcnt lgkmcnt(3)
	v_mul_f32_e32 v112, v64, v29
	v_fmac_f32_e32 v112, v63, v28
	v_mul_f32_e32 v28, v64, v28
	ds_read2_b64 v[44:47], v111 offset0:100 offset1:151
	ds_read2_b64 v[48:51], v56 offset0:50 offset1:101
	;; [unrolled: 1-line block ×3, first 2 shown]
	v_fma_f32 v29, v63, v29, -v28
	v_mul_f32_e32 v28, v62, v30
	v_mul_f32_e32 v63, v62, v31
	v_fma_f32 v31, v61, v31, -v28
	s_waitcnt lgkmcnt(4)
	v_mul_f32_e32 v28, v60, v36
	v_fmac_f32_e32 v63, v61, v30
	v_mul_f32_e32 v61, v60, v37
	v_fma_f32 v37, v59, v37, -v28
	v_mul_f32_e32 v28, v58, v38
	v_fmac_f32_e32 v61, v59, v36
	v_mul_f32_e32 v59, v58, v39
	v_fma_f32 v39, v57, v39, -v28
	s_waitcnt lgkmcnt(2)
	v_mul_f32_e32 v28, v68, v44
	v_fmac_f32_e32 v59, v57, v38
	v_mul_f32_e32 v57, v68, v45
	v_fma_f32 v45, v67, v45, -v28
	v_mul_f32_e32 v28, v66, v46
	v_mul_f32_e32 v58, v66, v47
	v_fma_f32 v47, v65, v47, -v28
	s_waitcnt lgkmcnt(0)
	v_mul_f32_e32 v60, v72, v53
	v_mul_f32_e32 v28, v72, v52
	v_fmac_f32_e32 v60, v71, v52
	v_fma_f32 v52, v71, v53, -v28
	v_mul_f32_e32 v53, v70, v55
	v_mul_f32_e32 v28, v70, v54
	v_fmac_f32_e32 v57, v67, v44
	v_fmac_f32_e32 v58, v65, v46
	;; [unrolled: 1-line block ×3, first 2 shown]
	v_fma_f32 v62, v69, v55, -v28
	v_sub_f32_e32 v28, v24, v112
	v_sub_f32_e32 v29, v25, v29
	v_fma_f32 v24, v24, 2.0, -v28
	v_fma_f32 v25, v25, 2.0, -v29
	v_sub_f32_e32 v30, v26, v63
	v_sub_f32_e32 v31, v27, v31
	;; [unrolled: 1-line block ×14, first 2 shown]
	v_fma_f32 v26, v26, 2.0, -v30
	v_fma_f32 v27, v27, 2.0, -v31
	;; [unrolled: 1-line block ×14, first 2 shown]
	s_waitcnt lgkmcnt(0)
	; wave barrier
	s_waitcnt vmcnt(8)
	ds_write2_b64 v128, v[24:25], v[28:29] offset1:17
	s_waitcnt vmcnt(7)
	ds_write2_b64 v129, v[26:27], v[30:31] offset1:17
	;; [unrolled: 2-line block ×7, first 2 shown]
	ds_write2_b64 v135, v[50:51], v[52:53] offset1:17
	v_add_u32_e32 v24, 0x400, v127
	s_waitcnt lgkmcnt(0)
	; wave barrier
	s_waitcnt lgkmcnt(0)
	ds_read2_b64 v[32:35], v127 offset1:51
	ds_read2_b64 v[24:27], v24 offset0:76 offset1:144
	ds_read2_b64 v[48:51], v111 offset0:32 offset1:83
	;; [unrolled: 1-line block ×6, first 2 shown]
	ds_read_b64 v[54:55], v127 offset:5984
	s_and_saveexec_b64 s[8:9], s[2:3]
	s_cbranch_execz .LBB0_19
; %bb.18:
	ds_read_b64 v[52:53], v127 offset:2040
	ds_read_b64 v[113:114], v127 offset:4216
	;; [unrolled: 1-line block ×3, first 2 shown]
.LBB0_19:
	s_or_b64 exec, exec, s[8:9]
	s_waitcnt lgkmcnt(6)
	v_mul_f32_e32 v56, v21, v27
	v_mul_f32_e32 v21, v21, v26
	v_fmac_f32_e32 v56, v20, v26
	v_fma_f32 v20, v20, v27, -v21
	s_waitcnt lgkmcnt(5)
	v_mul_f32_e32 v21, v23, v49
	v_mul_f32_e32 v23, v23, v48
	v_fmac_f32_e32 v21, v22, v48
	v_fma_f32 v22, v22, v49, -v23
	;; [unrolled: 5-line block ×3, first 2 shown]
	v_mul_f32_e32 v17, v19, v51
	v_mul_f32_e32 v19, v19, v50
	v_fmac_f32_e32 v17, v18, v50
	v_fma_f32 v18, v18, v51, -v19
	v_mul_f32_e32 v19, v13, v47
	v_mul_f32_e32 v13, v13, v46
	v_fmac_f32_e32 v19, v12, v46
	v_fma_f32 v26, v12, v47, -v13
	s_waitcnt lgkmcnt(2)
	v_mul_f32_e32 v27, v15, v41
	v_mul_f32_e32 v12, v15, v40
	v_fmac_f32_e32 v27, v14, v40
	v_fma_f32 v40, v14, v41, -v12
	s_waitcnt lgkmcnt(1)
	v_mul_f32_e32 v41, v5, v37
	v_mul_f32_e32 v5, v5, v36
	v_fmac_f32_e32 v41, v4, v36
	v_fma_f32 v36, v4, v37, -v5
	v_mul_f32_e32 v37, v7, v43
	v_mul_f32_e32 v4, v7, v42
	v_fmac_f32_e32 v37, v6, v42
	v_fma_f32 v42, v6, v43, -v4
	v_mul_f32_e32 v43, v9, v39
	v_mul_f32_e32 v4, v9, v38
	v_add_f32_e32 v7, v20, v22
	v_fmac_f32_e32 v43, v8, v38
	v_fma_f32 v38, v8, v39, -v4
	s_waitcnt lgkmcnt(0)
	v_mul_f32_e32 v39, v11, v55
	v_mul_f32_e32 v4, v11, v54
	v_fma_f32 v7, -0.5, v7, v33
	v_fmac_f32_e32 v39, v10, v54
	v_fma_f32 v44, v10, v55, -v4
	v_sub_f32_e32 v10, v56, v21
	v_mov_b32_e32 v9, v7
	v_add_f32_e32 v11, v23, v17
	v_fmac_f32_e32 v9, 0x3f5db3d7, v10
	v_fmac_f32_e32 v7, 0xbf5db3d7, v10
	v_add_f32_e32 v10, v34, v23
	v_fma_f32 v34, -0.5, v11, v34
	v_add_f32_e32 v5, v56, v21
	v_sub_f32_e32 v11, v16, v18
	v_mov_b32_e32 v12, v34
	v_add_f32_e32 v13, v16, v18
	v_fma_f32 v6, -0.5, v5, v32
	v_add_f32_e32 v10, v10, v17
	v_fmac_f32_e32 v12, 0xbf5db3d7, v11
	v_fmac_f32_e32 v34, 0x3f5db3d7, v11
	v_add_f32_e32 v11, v35, v16
	v_fmac_f32_e32 v35, -0.5, v13
	v_sub_f32_e32 v14, v23, v17
	v_add_f32_e32 v17, v26, v40
	v_add_f32_e32 v4, v32, v56
	v_sub_f32_e32 v5, v20, v22
	v_mov_b32_e32 v8, v6
	v_mov_b32_e32 v13, v35
	v_fma_f32 v17, -0.5, v17, v29
	v_add_f32_e32 v4, v4, v21
	v_fmac_f32_e32 v8, 0xbf5db3d7, v5
	v_fmac_f32_e32 v6, 0x3f5db3d7, v5
	v_add_f32_e32 v5, v33, v20
	v_fmac_f32_e32 v13, 0x3f5db3d7, v14
	v_fmac_f32_e32 v35, 0xbf5db3d7, v14
	v_add_f32_e32 v14, v28, v19
	v_add_f32_e32 v15, v19, v27
	v_sub_f32_e32 v20, v19, v27
	v_mov_b32_e32 v19, v17
	v_add_f32_e32 v21, v41, v37
	v_fmac_f32_e32 v19, 0x3f5db3d7, v20
	v_fmac_f32_e32 v17, 0xbf5db3d7, v20
	v_add_f32_e32 v20, v30, v41
	v_fma_f32 v30, -0.5, v21, v30
	v_add_f32_e32 v5, v5, v22
	v_fma_f32 v16, -0.5, v15, v28
	v_sub_f32_e32 v21, v36, v42
	v_mov_b32_e32 v22, v30
	v_add_f32_e32 v23, v36, v42
	v_add_f32_e32 v11, v11, v18
	v_sub_f32_e32 v15, v26, v40
	v_mov_b32_e32 v18, v16
	v_fmac_f32_e32 v22, 0xbf5db3d7, v21
	v_fmac_f32_e32 v30, 0x3f5db3d7, v21
	v_add_f32_e32 v21, v31, v36
	v_fmac_f32_e32 v31, -0.5, v23
	v_add_f32_e32 v14, v14, v27
	v_fmac_f32_e32 v18, 0xbf5db3d7, v15
	v_fmac_f32_e32 v16, 0x3f5db3d7, v15
	v_add_f32_e32 v15, v29, v26
	v_sub_f32_e32 v26, v41, v37
	v_mov_b32_e32 v23, v31
	v_add_f32_e32 v27, v43, v39
	v_fmac_f32_e32 v23, 0x3f5db3d7, v26
	v_fmac_f32_e32 v31, 0xbf5db3d7, v26
	v_add_f32_e32 v26, v24, v43
	v_fma_f32 v24, -0.5, v27, v24
	v_sub_f32_e32 v27, v38, v44
	v_mov_b32_e32 v28, v24
	v_add_f32_e32 v29, v38, v44
	v_fmac_f32_e32 v28, 0xbf5db3d7, v27
	v_fmac_f32_e32 v24, 0x3f5db3d7, v27
	v_add_f32_e32 v27, v25, v38
	v_fmac_f32_e32 v25, -0.5, v29
	v_sub_f32_e32 v32, v43, v39
	v_mov_b32_e32 v29, v25
	v_add_f32_e32 v15, v15, v40
	v_add_f32_e32 v20, v20, v37
	;; [unrolled: 1-line block ×5, first 2 shown]
	v_fmac_f32_e32 v29, 0x3f5db3d7, v32
	v_fmac_f32_e32 v25, 0xbf5db3d7, v32
	s_waitcnt lgkmcnt(0)
	; wave barrier
	ds_write2_b64 v141, v[4:5], v[8:9] offset1:34
	ds_write_b64 v141, v[6:7] offset:544
	ds_write2_b64 v142, v[10:11], v[12:13] offset1:34
	ds_write_b64 v142, v[34:35] offset:544
	;; [unrolled: 2-line block ×5, first 2 shown]
	s_and_saveexec_b64 s[8:9], s[2:3]
	s_cbranch_execz .LBB0_21
; %bb.20:
	v_mul_f32_e32 v4, v1, v113
	v_fma_f32 v5, v0, v114, -v4
	v_mul_f32_e32 v4, v3, v73
	v_fma_f32 v7, v2, v74, -v4
	v_add_f32_e32 v4, v5, v7
	v_mul_f32_e32 v8, v1, v114
	v_mul_f32_e32 v9, v3, v74
	v_fma_f32 v4, -0.5, v4, v53
	v_fmac_f32_e32 v8, v0, v113
	v_fmac_f32_e32 v9, v2, v73
	v_sub_f32_e32 v0, v8, v9
	v_mov_b32_e32 v1, v4
	v_fmac_f32_e32 v1, 0xbf5db3d7, v0
	v_fmac_f32_e32 v4, 0x3f5db3d7, v0
	v_add_f32_e32 v0, v53, v5
	v_add_f32_e32 v6, v0, v7
	;; [unrolled: 1-line block ×3, first 2 shown]
	v_fma_f32 v3, -0.5, v0, v52
	v_sub_f32_e32 v2, v5, v7
	v_mov_b32_e32 v0, v3
	v_fmac_f32_e32 v0, 0x3f5db3d7, v2
	v_fmac_f32_e32 v3, 0xbf5db3d7, v2
	v_add_f32_e32 v2, v52, v8
	v_add_f32_e32 v5, v2, v9
	v_add_u32_e32 v2, 0x1000, v140
	ds_write2_b64 v2, v[5:6], v[3:4] offset0:202 offset1:236
	ds_write_b64 v140, v[0:1] offset:6256
.LBB0_21:
	s_or_b64 exec, exec, s[8:9]
	v_add_u32_e32 v32, 0x800, v127
	s_waitcnt lgkmcnt(0)
	; wave barrier
	s_waitcnt lgkmcnt(0)
	ds_read2_b64 v[0:3], v127 offset1:51
	ds_read2_b64 v[4:7], v32 offset0:152 offset1:203
	ds_read2_b64 v[8:11], v127 offset0:102 offset1:153
	v_add_u32_e32 v33, 0xc00, v127
	ds_read2_b64 v[12:15], v33 offset0:126 offset1:177
	ds_read2_b64 v[16:19], v127 offset0:204 offset1:255
	v_add_u32_e32 v34, 0x1000, v127
	s_waitcnt lgkmcnt(3)
	v_mul_f32_e32 v35, v76, v5
	v_fmac_f32_e32 v35, v75, v4
	v_mul_f32_e32 v4, v76, v4
	ds_read2_b64 v[20:23], v34 offset0:100 offset1:151
	ds_read2_b64 v[24:27], v32 offset0:50 offset1:101
	;; [unrolled: 1-line block ×3, first 2 shown]
	v_fma_f32 v5, v75, v5, -v4
	v_mul_f32_e32 v4, v78, v6
	v_mul_f32_e32 v36, v78, v7
	v_fma_f32 v7, v77, v7, -v4
	s_waitcnt lgkmcnt(4)
	v_mul_f32_e32 v4, v76, v12
	v_mul_f32_e32 v37, v76, v13
	v_fma_f32 v13, v75, v13, -v4
	v_mul_f32_e32 v4, v78, v14
	v_mul_f32_e32 v38, v78, v15
	v_fma_f32 v15, v77, v15, -v4
	s_waitcnt lgkmcnt(2)
	v_mul_f32_e32 v4, v86, v20
	v_mul_f32_e32 v39, v86, v21
	v_fma_f32 v21, v85, v21, -v4
	v_mul_f32_e32 v4, v84, v22
	v_mul_f32_e32 v40, v84, v23
	v_fma_f32 v23, v83, v23, -v4
	s_waitcnt lgkmcnt(0)
	v_mul_f32_e32 v4, v82, v28
	v_fmac_f32_e32 v36, v77, v6
	v_mul_f32_e32 v41, v82, v29
	v_fma_f32 v29, v81, v29, -v4
	v_mul_f32_e32 v4, v80, v30
	v_fmac_f32_e32 v37, v75, v12
	v_fmac_f32_e32 v38, v77, v14
	;; [unrolled: 1-line block ×3, first 2 shown]
	v_mul_f32_e32 v42, v80, v31
	v_fma_f32 v31, v79, v31, -v4
	v_sub_f32_e32 v4, v0, v35
	v_sub_f32_e32 v5, v1, v5
	;; [unrolled: 1-line block ×4, first 2 shown]
	v_fmac_f32_e32 v40, v83, v22
	v_fma_f32 v0, v0, 2.0, -v4
	v_fma_f32 v1, v1, 2.0, -v5
	;; [unrolled: 1-line block ×4, first 2 shown]
	v_sub_f32_e32 v12, v8, v37
	v_sub_f32_e32 v13, v9, v13
	;; [unrolled: 1-line block ×6, first 2 shown]
	v_fmac_f32_e32 v41, v81, v28
	v_fma_f32 v8, v8, 2.0, -v12
	v_fma_f32 v9, v9, 2.0, -v13
	;; [unrolled: 1-line block ×6, first 2 shown]
	v_sub_f32_e32 v22, v18, v40
	v_sub_f32_e32 v23, v19, v23
	s_waitcnt lgkmcnt(0)
	; wave barrier
	ds_write2_b64 v127, v[0:1], v[2:3] offset1:51
	ds_write2_b64 v127, v[4:5], v[6:7] offset0:102 offset1:153
	ds_write2_b64 v127, v[8:9], v[10:11] offset0:204 offset1:255
	;; [unrolled: 1-line block ×3, first 2 shown]
	v_add_u32_e32 v0, 0x800, v139
	v_fmac_f32_e32 v42, v79, v30
	v_fma_f32 v18, v18, 2.0, -v22
	v_fma_f32 v19, v19, 2.0, -v23
	v_sub_f32_e32 v28, v24, v41
	v_sub_f32_e32 v29, v25, v29
	ds_write2_b64 v0, v[16:17], v[20:21] offset0:152 offset1:254
	v_add_u32_e32 v0, 0x800, v138
	v_fma_f32 v24, v24, 2.0, -v28
	v_fma_f32 v25, v25, 2.0, -v29
	v_sub_f32_e32 v30, v26, v42
	v_sub_f32_e32 v31, v27, v31
	ds_write2_b64 v0, v[18:19], v[22:23] offset0:152 offset1:254
	v_add_u32_e32 v0, 0x1000, v137
	v_fma_f32 v26, v26, 2.0, -v30
	v_fma_f32 v27, v27, 2.0, -v31
	ds_write2_b64 v0, v[24:25], v[28:29] offset0:100 offset1:202
	s_waitcnt vmcnt(0)
	v_add_u32_e32 v0, 0x1000, v136
	ds_write2_b64 v0, v[26:27], v[30:31] offset0:100 offset1:202
	s_waitcnt lgkmcnt(0)
	; wave barrier
	s_waitcnt lgkmcnt(0)
	ds_read2_b64 v[0:3], v127 offset1:51
	ds_read2_b64 v[4:7], v32 offset0:152 offset1:203
	ds_read2_b64 v[8:11], v127 offset0:102 offset1:153
	;; [unrolled: 1-line block ×7, first 2 shown]
	s_waitcnt lgkmcnt(6)
	v_mul_f32_e32 v35, v88, v5
	v_fmac_f32_e32 v35, v87, v4
	v_mul_f32_e32 v4, v88, v4
	v_fma_f32 v5, v87, v5, -v4
	v_mul_f32_e32 v4, v90, v6
	v_mul_f32_e32 v36, v90, v7
	v_fma_f32 v7, v89, v7, -v4
	s_waitcnt lgkmcnt(4)
	v_mul_f32_e32 v4, v92, v12
	v_mul_f32_e32 v37, v92, v13
	v_fma_f32 v13, v91, v13, -v4
	v_mul_f32_e32 v4, v94, v14
	v_mul_f32_e32 v38, v94, v15
	v_fma_f32 v15, v93, v15, -v4
	s_waitcnt lgkmcnt(2)
	v_mul_f32_e32 v4, v88, v20
	;; [unrolled: 7-line block ×3, first 2 shown]
	v_mul_f32_e32 v41, v92, v29
	v_fma_f32 v29, v91, v29, -v4
	v_mul_f32_e32 v42, v94, v31
	v_mul_f32_e32 v4, v94, v30
	v_fmac_f32_e32 v36, v89, v6
	v_fmac_f32_e32 v37, v91, v12
	;; [unrolled: 1-line block ×7, first 2 shown]
	v_fma_f32 v31, v93, v31, -v4
	v_sub_f32_e32 v4, v0, v35
	v_sub_f32_e32 v5, v1, v5
	;; [unrolled: 1-line block ×16, first 2 shown]
	v_fma_f32 v0, v0, 2.0, -v4
	v_fma_f32 v1, v1, 2.0, -v5
	;; [unrolled: 1-line block ×16, first 2 shown]
	s_waitcnt lgkmcnt(0)
	; wave barrier
	ds_write2_b64 v127, v[0:1], v[2:3] offset1:51
	ds_write2_b64 v127, v[4:5], v[6:7] offset0:204 offset1:255
	ds_write2_b64 v127, v[8:9], v[10:11] offset0:102 offset1:153
	;; [unrolled: 1-line block ×7, first 2 shown]
	s_waitcnt lgkmcnt(0)
	; wave barrier
	s_waitcnt lgkmcnt(0)
	ds_read2_b64 v[0:3], v127 offset1:51
	ds_read2_b64 v[4:7], v32 offset0:152 offset1:203
	ds_read2_b64 v[8:11], v127 offset0:102 offset1:153
	;; [unrolled: 1-line block ×7, first 2 shown]
	s_waitcnt lgkmcnt(6)
	v_mul_f32_e32 v35, v96, v5
	v_fmac_f32_e32 v35, v95, v4
	v_mul_f32_e32 v4, v96, v4
	v_fma_f32 v5, v95, v5, -v4
	v_mul_f32_e32 v4, v98, v6
	v_mul_f32_e32 v36, v98, v7
	v_fma_f32 v7, v97, v7, -v4
	s_waitcnt lgkmcnt(4)
	v_mul_f32_e32 v4, v100, v12
	v_mul_f32_e32 v37, v100, v13
	v_fma_f32 v13, v99, v13, -v4
	v_mul_f32_e32 v4, v102, v14
	v_mul_f32_e32 v38, v102, v15
	v_fma_f32 v15, v101, v15, -v4
	s_waitcnt lgkmcnt(2)
	v_mul_f32_e32 v4, v104, v20
	;; [unrolled: 7-line block ×3, first 2 shown]
	v_fmac_f32_e32 v36, v97, v6
	v_mul_f32_e32 v41, v108, v29
	v_fma_f32 v29, v107, v29, -v4
	v_mul_f32_e32 v42, v110, v31
	v_mul_f32_e32 v4, v110, v30
	v_fmac_f32_e32 v37, v99, v12
	v_fmac_f32_e32 v38, v101, v14
	;; [unrolled: 1-line block ×6, first 2 shown]
	v_fma_f32 v31, v109, v31, -v4
	v_sub_f32_e32 v4, v0, v35
	v_sub_f32_e32 v5, v1, v5
	;; [unrolled: 1-line block ×4, first 2 shown]
	s_movk_i32 s2, 0x1000
	v_fma_f32 v0, v0, 2.0, -v4
	v_fma_f32 v1, v1, 2.0, -v5
	;; [unrolled: 1-line block ×4, first 2 shown]
	v_sub_f32_e32 v12, v8, v37
	v_sub_f32_e32 v13, v9, v13
	;; [unrolled: 1-line block ×12, first 2 shown]
	v_fma_f32 v8, v8, 2.0, -v12
	v_fma_f32 v9, v9, 2.0, -v13
	;; [unrolled: 1-line block ×12, first 2 shown]
	ds_write2_b64 v127, v[0:1], v[2:3] offset1:51
	ds_write2_b64 v32, v[4:5], v[6:7] offset0:152 offset1:203
	ds_write2_b64 v127, v[8:9], v[10:11] offset0:102 offset1:153
	;; [unrolled: 1-line block ×7, first 2 shown]
	s_waitcnt lgkmcnt(0)
	; wave barrier
	s_waitcnt lgkmcnt(0)
	s_and_b64 exec, exec, s[0:1]
	s_cbranch_execz .LBB0_23
; %bb.22:
	global_load_dwordx2 v[0:1], v126, s[12:13]
	ds_read_b64 v[4:5], v127
	v_mad_u64_u32 v[2:3], s[0:1], s6, v205, 0
	v_mad_u64_u32 v[6:7], s[0:1], s4, v125, 0
	s_waitcnt lgkmcnt(0)
	v_mad_u64_u32 v[8:9], s[6:7], s7, v205, v[3:4]
	s_mov_b32 s0, 0x14141414
	s_mov_b32 s1, 0x3f541414
	v_mad_u64_u32 v[9:10], s[6:7], s5, v125, v[7:8]
	v_mov_b32_e32 v11, s15
	s_mul_i32 s6, s5, 0x180
	v_mov_b32_e32 v7, v9
	s_mul_hi_u32 s7, s4, 0x180
	s_mul_i32 s3, s4, 0x180
	s_add_i32 s6, s7, s6
	s_mul_i32 s7, s4, 0x300
	v_add_u32_e32 v13, 0x1000, v126
	v_mov_b32_e32 v15, s6
	s_waitcnt vmcnt(0)
	v_mul_f32_e32 v3, v5, v1
	v_mul_f32_e32 v1, v4, v1
	v_fmac_f32_e32 v3, v4, v0
	v_fma_f32 v4, v0, v5, -v1
	v_cvt_f64_f32_e32 v[0:1], v3
	v_cvt_f64_f32_e32 v[4:5], v4
	v_mov_b32_e32 v3, v8
	v_mul_f64 v[8:9], v[0:1], s[0:1]
	v_mul_f64 v[4:5], v[4:5], s[0:1]
	v_lshlrev_b64 v[0:1], 3, v[2:3]
	v_lshlrev_b64 v[2:3], 3, v[6:7]
	v_add_co_u32_e32 v0, vcc, s14, v0
	v_addc_co_u32_e32 v1, vcc, v11, v1, vcc
	v_cvt_f32_f64_e32 v6, v[8:9]
	v_cvt_f32_f64_e32 v7, v[4:5]
	v_add_co_u32_e32 v8, vcc, v0, v2
	v_addc_co_u32_e32 v9, vcc, v1, v3, vcc
	global_store_dwordx2 v[8:9], v[6:7], off
	global_load_dwordx2 v[6:7], v126, s[12:13] offset:384
	ds_read2_b64 v[2:5], v126 offset0:48 offset1:96
	s_waitcnt vmcnt(0) lgkmcnt(0)
	v_mul_f32_e32 v10, v3, v7
	v_mul_f32_e32 v7, v2, v7
	v_fmac_f32_e32 v10, v2, v6
	v_fma_f32 v6, v6, v3, -v7
	v_cvt_f64_f32_e32 v[2:3], v10
	v_cvt_f64_f32_e32 v[6:7], v6
	v_mov_b32_e32 v10, s6
	v_mul_f64 v[2:3], v[2:3], s[0:1]
	v_mul_f64 v[6:7], v[6:7], s[0:1]
	v_cvt_f32_f64_e32 v2, v[2:3]
	v_cvt_f32_f64_e32 v3, v[6:7]
	v_add_co_u32_e32 v6, vcc, s3, v8
	v_addc_co_u32_e32 v7, vcc, v9, v10, vcc
	global_store_dwordx2 v[6:7], v[2:3], off
	global_load_dwordx2 v[2:3], v126, s[12:13] offset:768
	v_add_co_u32_e32 v6, vcc, s3, v6
	s_waitcnt vmcnt(0)
	v_mul_f32_e32 v8, v5, v3
	v_mul_f32_e32 v3, v4, v3
	v_fmac_f32_e32 v8, v4, v2
	v_fma_f32 v4, v2, v5, -v3
	v_cvt_f64_f32_e32 v[2:3], v8
	v_cvt_f64_f32_e32 v[4:5], v4
	v_mov_b32_e32 v8, s6
	v_addc_co_u32_e32 v7, vcc, v7, v8, vcc
	v_mul_f64 v[2:3], v[2:3], s[0:1]
	v_mul_f64 v[4:5], v[4:5], s[0:1]
	v_cvt_f32_f64_e32 v2, v[2:3]
	v_cvt_f32_f64_e32 v3, v[4:5]
	global_store_dwordx2 v[6:7], v[2:3], off
	global_load_dwordx2 v[8:9], v126, s[12:13] offset:1152
	ds_read2_b64 v[2:5], v126 offset0:144 offset1:192
	v_add_co_u32_e32 v6, vcc, s3, v6
	s_waitcnt vmcnt(0) lgkmcnt(0)
	v_mul_f32_e32 v10, v3, v9
	v_mul_f32_e32 v9, v2, v9
	v_fmac_f32_e32 v10, v2, v8
	v_fma_f32 v8, v8, v3, -v9
	v_cvt_f64_f32_e32 v[2:3], v10
	v_cvt_f64_f32_e32 v[8:9], v8
	v_mov_b32_e32 v10, s6
	v_addc_co_u32_e32 v7, vcc, v7, v10, vcc
	v_mul_f64 v[2:3], v[2:3], s[0:1]
	v_mul_f64 v[8:9], v[8:9], s[0:1]
	v_or_b32_e32 v10, 0xc0, v125
	v_cvt_f32_f64_e32 v2, v[2:3]
	v_cvt_f32_f64_e32 v3, v[8:9]
	v_mad_u64_u32 v[8:9], s[8:9], s4, v10, 0
	global_store_dwordx2 v[6:7], v[2:3], off
	global_load_dwordx2 v[2:3], v126, s[12:13] offset:1536
	v_mad_u64_u32 v[9:10], s[8:9], s5, v10, v[9:10]
	s_mul_i32 s8, s5, 0x300
	s_mul_hi_u32 s9, s4, 0x300
	v_lshlrev_b64 v[8:9], 3, v[8:9]
	s_add_i32 s8, s9, s8
	s_waitcnt vmcnt(0)
	v_mul_f32_e32 v11, v5, v3
	v_mul_f32_e32 v3, v4, v3
	v_fmac_f32_e32 v11, v4, v2
	v_fma_f32 v4, v2, v5, -v3
	v_cvt_f64_f32_e32 v[2:3], v11
	v_cvt_f64_f32_e32 v[4:5], v4
	v_add_u32_e32 v11, 0x800, v126
	v_mul_f64 v[2:3], v[2:3], s[0:1]
	v_mul_f64 v[4:5], v[4:5], s[0:1]
	v_cvt_f32_f64_e32 v2, v[2:3]
	v_cvt_f32_f64_e32 v3, v[4:5]
	v_add_co_u32_e32 v4, vcc, v0, v8
	v_addc_co_u32_e32 v5, vcc, v1, v9, vcc
	global_store_dwordx2 v[4:5], v[2:3], off
	global_load_dwordx2 v[8:9], v126, s[12:13] offset:1920
	v_add_u32_e32 v2, 0x400, v126
	ds_read2_b64 v[2:5], v2 offset0:112 offset1:160
	v_add_co_u32_e32 v6, vcc, s7, v6
	s_waitcnt vmcnt(0) lgkmcnt(0)
	v_mul_f32_e32 v10, v3, v9
	v_mul_f32_e32 v9, v2, v9
	v_fmac_f32_e32 v10, v2, v8
	v_fma_f32 v8, v8, v3, -v9
	v_cvt_f64_f32_e32 v[2:3], v10
	v_cvt_f64_f32_e32 v[8:9], v8
	v_mov_b32_e32 v10, s8
	v_addc_co_u32_e32 v7, vcc, v7, v10, vcc
	v_mul_f64 v[2:3], v[2:3], s[0:1]
	v_mul_f64 v[8:9], v[8:9], s[0:1]
	v_cvt_f32_f64_e32 v2, v[2:3]
	v_cvt_f32_f64_e32 v3, v[8:9]
	global_store_dwordx2 v[6:7], v[2:3], off
	global_load_dwordx2 v[2:3], v126, s[12:13] offset:2304
	v_add_co_u32_e32 v6, vcc, s3, v6
	s_waitcnt vmcnt(0)
	v_mul_f32_e32 v8, v5, v3
	v_mul_f32_e32 v3, v4, v3
	v_fmac_f32_e32 v8, v4, v2
	v_fma_f32 v4, v2, v5, -v3
	v_cvt_f64_f32_e32 v[2:3], v8
	v_cvt_f64_f32_e32 v[4:5], v4
	v_mov_b32_e32 v8, s6
	v_addc_co_u32_e32 v7, vcc, v7, v8, vcc
	v_mul_f64 v[2:3], v[2:3], s[0:1]
	v_mul_f64 v[4:5], v[4:5], s[0:1]
	v_cvt_f32_f64_e32 v2, v[2:3]
	v_cvt_f32_f64_e32 v3, v[4:5]
	global_store_dwordx2 v[6:7], v[2:3], off
	global_load_dwordx2 v[8:9], v126, s[12:13] offset:2688
	ds_read2_b64 v[2:5], v11 offset0:80 offset1:128
	v_add_co_u32_e32 v6, vcc, s3, v6
	s_waitcnt vmcnt(0) lgkmcnt(0)
	v_mul_f32_e32 v10, v3, v9
	v_mul_f32_e32 v9, v2, v9
	v_fmac_f32_e32 v10, v2, v8
	v_fma_f32 v8, v8, v3, -v9
	v_cvt_f64_f32_e32 v[2:3], v10
	v_cvt_f64_f32_e32 v[8:9], v8
	v_mov_b32_e32 v10, s6
	v_addc_co_u32_e32 v7, vcc, v7, v10, vcc
	v_mul_f64 v[2:3], v[2:3], s[0:1]
	v_mul_f64 v[8:9], v[8:9], s[0:1]
	v_or_b32_e32 v10, 0x180, v125
	v_cvt_f32_f64_e32 v2, v[2:3]
	v_cvt_f32_f64_e32 v3, v[8:9]
	v_mad_u64_u32 v[8:9], s[10:11], s4, v10, 0
	global_store_dwordx2 v[6:7], v[2:3], off
	global_load_dwordx2 v[2:3], v126, s[12:13] offset:3072
	v_mad_u64_u32 v[9:10], s[10:11], s5, v10, v[9:10]
	v_lshlrev_b64 v[8:9], 3, v[8:9]
	s_waitcnt vmcnt(0)
	v_mul_f32_e32 v12, v5, v3
	v_mul_f32_e32 v3, v4, v3
	v_fmac_f32_e32 v12, v4, v2
	v_fma_f32 v4, v2, v5, -v3
	v_cvt_f64_f32_e32 v[2:3], v12
	v_cvt_f64_f32_e32 v[4:5], v4
	v_mul_f64 v[2:3], v[2:3], s[0:1]
	v_mul_f64 v[4:5], v[4:5], s[0:1]
	v_cvt_f32_f64_e32 v2, v[2:3]
	v_cvt_f32_f64_e32 v3, v[4:5]
	v_add_co_u32_e32 v4, vcc, v0, v8
	v_addc_co_u32_e32 v5, vcc, v1, v9, vcc
	global_store_dwordx2 v[4:5], v[2:3], off
	global_load_dwordx2 v[8:9], v126, s[12:13] offset:3456
	ds_read2_b64 v[2:5], v11 offset0:176 offset1:224
	v_add_co_u32_e32 v6, vcc, s7, v6
	v_mov_b32_e32 v11, s6
	s_waitcnt vmcnt(0) lgkmcnt(0)
	v_mul_f32_e32 v10, v3, v9
	v_mul_f32_e32 v9, v2, v9
	v_fmac_f32_e32 v10, v2, v8
	v_fma_f32 v8, v8, v3, -v9
	v_cvt_f64_f32_e32 v[2:3], v10
	v_cvt_f64_f32_e32 v[8:9], v8
	v_mov_b32_e32 v10, s8
	v_addc_co_u32_e32 v7, vcc, v7, v10, vcc
	v_mul_f64 v[2:3], v[2:3], s[0:1]
	v_mul_f64 v[8:9], v[8:9], s[0:1]
	v_cvt_f32_f64_e32 v2, v[2:3]
	v_cvt_f32_f64_e32 v3, v[8:9]
	v_add_co_u32_e32 v9, vcc, s12, v126
	global_store_dwordx2 v[6:7], v[2:3], off
	global_load_dwordx2 v[2:3], v126, s[12:13] offset:3840
	s_waitcnt vmcnt(0)
	v_mul_f32_e32 v8, v5, v3
	v_mul_f32_e32 v3, v4, v3
	v_fmac_f32_e32 v8, v4, v2
	v_fma_f32 v4, v2, v5, -v3
	v_cvt_f64_f32_e32 v[2:3], v8
	v_cvt_f64_f32_e32 v[4:5], v4
	v_mov_b32_e32 v8, s13
	v_addc_co_u32_e32 v10, vcc, 0, v8, vcc
	v_mul_f64 v[2:3], v[2:3], s[0:1]
	v_mul_f64 v[4:5], v[4:5], s[0:1]
	v_add_co_u32_e32 v8, vcc, s2, v9
	v_addc_co_u32_e32 v9, vcc, 0, v10, vcc
	v_add_co_u32_e32 v6, vcc, s3, v6
	v_cvt_f32_f64_e32 v2, v[2:3]
	v_cvt_f32_f64_e32 v3, v[4:5]
	v_addc_co_u32_e32 v7, vcc, v7, v11, vcc
	global_store_dwordx2 v[6:7], v[2:3], off
	global_load_dwordx2 v[10:11], v[8:9], off offset:128
	ds_read2_b64 v[2:5], v13 offset0:16 offset1:64
	v_add_co_u32_e32 v6, vcc, s3, v6
	v_addc_co_u32_e32 v7, vcc, v7, v15, vcc
	s_waitcnt vmcnt(0) lgkmcnt(0)
	v_mul_f32_e32 v12, v3, v11
	v_mul_f32_e32 v11, v2, v11
	v_fmac_f32_e32 v12, v2, v10
	v_fma_f32 v10, v10, v3, -v11
	v_cvt_f64_f32_e32 v[2:3], v12
	v_cvt_f64_f32_e32 v[10:11], v10
	v_or_b32_e32 v12, 0x240, v125
	v_lshlrev_b32_e32 v14, 3, v12
	v_mul_f64 v[2:3], v[2:3], s[0:1]
	v_mul_f64 v[10:11], v[10:11], s[0:1]
	v_cvt_f32_f64_e32 v2, v[2:3]
	v_cvt_f32_f64_e32 v3, v[10:11]
	v_mad_u64_u32 v[10:11], s[10:11], s4, v12, 0
	global_store_dwordx2 v[6:7], v[2:3], off
	global_load_dwordx2 v[2:3], v14, s[12:13]
	v_mad_u64_u32 v[11:12], s[10:11], s5, v12, v[11:12]
	v_lshlrev_b64 v[10:11], 3, v[10:11]
	s_waitcnt vmcnt(0)
	v_mul_f32_e32 v14, v5, v3
	v_mul_f32_e32 v3, v4, v3
	v_fmac_f32_e32 v14, v4, v2
	v_fma_f32 v4, v2, v5, -v3
	v_cvt_f64_f32_e32 v[2:3], v14
	v_cvt_f64_f32_e32 v[4:5], v4
	v_mul_f64 v[2:3], v[2:3], s[0:1]
	v_mul_f64 v[4:5], v[4:5], s[0:1]
	v_cvt_f32_f64_e32 v2, v[2:3]
	v_cvt_f32_f64_e32 v3, v[4:5]
	v_add_co_u32_e32 v4, vcc, v0, v10
	v_addc_co_u32_e32 v5, vcc, v1, v11, vcc
	global_store_dwordx2 v[4:5], v[2:3], off
	global_load_dwordx2 v[10:11], v[8:9], off offset:896
	ds_read2_b64 v[2:5], v13 offset0:112 offset1:160
	v_add_co_u32_e32 v6, vcc, s7, v6
	s_waitcnt vmcnt(0) lgkmcnt(0)
	v_mul_f32_e32 v12, v3, v11
	v_mul_f32_e32 v11, v2, v11
	v_fmac_f32_e32 v12, v2, v10
	v_fma_f32 v10, v10, v3, -v11
	v_cvt_f64_f32_e32 v[2:3], v12
	v_cvt_f64_f32_e32 v[10:11], v10
	v_mov_b32_e32 v12, s8
	v_addc_co_u32_e32 v7, vcc, v7, v12, vcc
	v_mul_f64 v[2:3], v[2:3], s[0:1]
	v_mul_f64 v[10:11], v[10:11], s[0:1]
	v_mov_b32_e32 v12, s6
	v_cvt_f32_f64_e32 v2, v[2:3]
	v_cvt_f32_f64_e32 v3, v[10:11]
	global_store_dwordx2 v[6:7], v[2:3], off
	global_load_dwordx2 v[2:3], v[8:9], off offset:1280
	v_add_co_u32_e32 v6, vcc, s3, v6
	s_waitcnt vmcnt(0)
	v_mul_f32_e32 v10, v5, v3
	v_mul_f32_e32 v3, v4, v3
	v_fmac_f32_e32 v10, v4, v2
	v_fma_f32 v4, v2, v5, -v3
	v_cvt_f64_f32_e32 v[2:3], v10
	v_cvt_f64_f32_e32 v[4:5], v4
	v_mov_b32_e32 v10, s6
	v_addc_co_u32_e32 v7, vcc, v7, v10, vcc
	v_mul_f64 v[2:3], v[2:3], s[0:1]
	v_mul_f64 v[4:5], v[4:5], s[0:1]
	v_cvt_f32_f64_e32 v2, v[2:3]
	v_cvt_f32_f64_e32 v3, v[4:5]
	global_store_dwordx2 v[6:7], v[2:3], off
	global_load_dwordx2 v[8:9], v[8:9], off offset:1664
	v_add_u32_e32 v2, 0x1400, v126
	ds_read2_b64 v[2:5], v2 offset0:80 offset1:128
	v_add_co_u32_e32 v6, vcc, s3, v6
	v_addc_co_u32_e32 v7, vcc, v7, v12, vcc
	s_waitcnt vmcnt(0) lgkmcnt(0)
	v_mul_f32_e32 v10, v3, v9
	v_mul_f32_e32 v9, v2, v9
	v_fmac_f32_e32 v10, v2, v8
	v_fma_f32 v8, v8, v3, -v9
	v_cvt_f64_f32_e32 v[2:3], v10
	v_cvt_f64_f32_e32 v[8:9], v8
	v_or_b32_e32 v10, 0x300, v125
	v_lshlrev_b32_e32 v11, 3, v10
	v_mul_f64 v[2:3], v[2:3], s[0:1]
	v_mul_f64 v[8:9], v[8:9], s[0:1]
	v_cvt_f32_f64_e32 v2, v[2:3]
	v_cvt_f32_f64_e32 v3, v[8:9]
	global_store_dwordx2 v[6:7], v[2:3], off
	global_load_dwordx2 v[2:3], v11, s[12:13]
	v_mad_u64_u32 v[6:7], s[2:3], s4, v10, 0
	s_waitcnt vmcnt(0)
	v_mul_f32_e32 v8, v5, v3
	v_mul_f32_e32 v3, v4, v3
	v_fmac_f32_e32 v8, v4, v2
	v_fma_f32 v4, v2, v5, -v3
	v_cvt_f64_f32_e32 v[2:3], v8
	v_cvt_f64_f32_e32 v[4:5], v4
	v_mul_f64 v[2:3], v[2:3], s[0:1]
	v_mul_f64 v[4:5], v[4:5], s[0:1]
	v_mad_u64_u32 v[7:8], s[0:1], s5, v10, v[7:8]
	v_lshlrev_b64 v[6:7], 3, v[6:7]
	v_cvt_f32_f64_e32 v2, v[2:3]
	v_cvt_f32_f64_e32 v3, v[4:5]
	v_add_co_u32_e32 v0, vcc, v0, v6
	v_addc_co_u32_e32 v1, vcc, v1, v7, vcc
	global_store_dwordx2 v[0:1], v[2:3], off
.LBB0_23:
	s_endpgm
	.section	.rodata,"a",@progbits
	.p2align	6, 0x0
	.amdhsa_kernel bluestein_single_fwd_len816_dim1_sp_op_CI_CI
		.amdhsa_group_segment_fixed_size 6528
		.amdhsa_private_segment_fixed_size 40
		.amdhsa_kernarg_size 104
		.amdhsa_user_sgpr_count 6
		.amdhsa_user_sgpr_private_segment_buffer 1
		.amdhsa_user_sgpr_dispatch_ptr 0
		.amdhsa_user_sgpr_queue_ptr 0
		.amdhsa_user_sgpr_kernarg_segment_ptr 1
		.amdhsa_user_sgpr_dispatch_id 0
		.amdhsa_user_sgpr_flat_scratch_init 0
		.amdhsa_user_sgpr_private_segment_size 0
		.amdhsa_uses_dynamic_stack 0
		.amdhsa_system_sgpr_private_segment_wavefront_offset 1
		.amdhsa_system_sgpr_workgroup_id_x 1
		.amdhsa_system_sgpr_workgroup_id_y 0
		.amdhsa_system_sgpr_workgroup_id_z 0
		.amdhsa_system_sgpr_workgroup_info 0
		.amdhsa_system_vgpr_workitem_id 0
		.amdhsa_next_free_vgpr 256
		.amdhsa_next_free_sgpr 28
		.amdhsa_reserve_vcc 1
		.amdhsa_reserve_flat_scratch 0
		.amdhsa_float_round_mode_32 0
		.amdhsa_float_round_mode_16_64 0
		.amdhsa_float_denorm_mode_32 3
		.amdhsa_float_denorm_mode_16_64 3
		.amdhsa_dx10_clamp 1
		.amdhsa_ieee_mode 1
		.amdhsa_fp16_overflow 0
		.amdhsa_exception_fp_ieee_invalid_op 0
		.amdhsa_exception_fp_denorm_src 0
		.amdhsa_exception_fp_ieee_div_zero 0
		.amdhsa_exception_fp_ieee_overflow 0
		.amdhsa_exception_fp_ieee_underflow 0
		.amdhsa_exception_fp_ieee_inexact 0
		.amdhsa_exception_int_div_zero 0
	.end_amdhsa_kernel
	.text
.Lfunc_end0:
	.size	bluestein_single_fwd_len816_dim1_sp_op_CI_CI, .Lfunc_end0-bluestein_single_fwd_len816_dim1_sp_op_CI_CI
                                        ; -- End function
	.section	.AMDGPU.csdata,"",@progbits
; Kernel info:
; codeLenInByte = 21800
; NumSgprs: 32
; NumVgprs: 256
; ScratchSize: 40
; MemoryBound: 0
; FloatMode: 240
; IeeeMode: 1
; LDSByteSize: 6528 bytes/workgroup (compile time only)
; SGPRBlocks: 3
; VGPRBlocks: 63
; NumSGPRsForWavesPerEU: 32
; NumVGPRsForWavesPerEU: 256
; Occupancy: 1
; WaveLimiterHint : 1
; COMPUTE_PGM_RSRC2:SCRATCH_EN: 1
; COMPUTE_PGM_RSRC2:USER_SGPR: 6
; COMPUTE_PGM_RSRC2:TRAP_HANDLER: 0
; COMPUTE_PGM_RSRC2:TGID_X_EN: 1
; COMPUTE_PGM_RSRC2:TGID_Y_EN: 0
; COMPUTE_PGM_RSRC2:TGID_Z_EN: 0
; COMPUTE_PGM_RSRC2:TIDIG_COMP_CNT: 0
	.type	__hip_cuid_28e5e21acbb04cc0,@object ; @__hip_cuid_28e5e21acbb04cc0
	.section	.bss,"aw",@nobits
	.globl	__hip_cuid_28e5e21acbb04cc0
__hip_cuid_28e5e21acbb04cc0:
	.byte	0                               ; 0x0
	.size	__hip_cuid_28e5e21acbb04cc0, 1

	.ident	"AMD clang version 19.0.0git (https://github.com/RadeonOpenCompute/llvm-project roc-6.4.0 25133 c7fe45cf4b819c5991fe208aaa96edf142730f1d)"
	.section	".note.GNU-stack","",@progbits
	.addrsig
	.addrsig_sym __hip_cuid_28e5e21acbb04cc0
	.amdgpu_metadata
---
amdhsa.kernels:
  - .args:
      - .actual_access:  read_only
        .address_space:  global
        .offset:         0
        .size:           8
        .value_kind:     global_buffer
      - .actual_access:  read_only
        .address_space:  global
        .offset:         8
        .size:           8
        .value_kind:     global_buffer
      - .actual_access:  read_only
        .address_space:  global
        .offset:         16
        .size:           8
        .value_kind:     global_buffer
      - .actual_access:  read_only
        .address_space:  global
        .offset:         24
        .size:           8
        .value_kind:     global_buffer
      - .actual_access:  read_only
        .address_space:  global
        .offset:         32
        .size:           8
        .value_kind:     global_buffer
      - .offset:         40
        .size:           8
        .value_kind:     by_value
      - .address_space:  global
        .offset:         48
        .size:           8
        .value_kind:     global_buffer
      - .address_space:  global
        .offset:         56
        .size:           8
        .value_kind:     global_buffer
      - .address_space:  global
        .offset:         64
        .size:           8
        .value_kind:     global_buffer
      - .address_space:  global
        .offset:         72
        .size:           8
        .value_kind:     global_buffer
      - .offset:         80
        .size:           4
        .value_kind:     by_value
      - .address_space:  global
        .offset:         88
        .size:           8
        .value_kind:     global_buffer
      - .address_space:  global
        .offset:         96
        .size:           8
        .value_kind:     global_buffer
    .group_segment_fixed_size: 6528
    .kernarg_segment_align: 8
    .kernarg_segment_size: 104
    .language:       OpenCL C
    .language_version:
      - 2
      - 0
    .max_flat_workgroup_size: 51
    .name:           bluestein_single_fwd_len816_dim1_sp_op_CI_CI
    .private_segment_fixed_size: 40
    .sgpr_count:     32
    .sgpr_spill_count: 0
    .symbol:         bluestein_single_fwd_len816_dim1_sp_op_CI_CI.kd
    .uniform_work_group_size: 1
    .uses_dynamic_stack: false
    .vgpr_count:     256
    .vgpr_spill_count: 9
    .wavefront_size: 64
amdhsa.target:   amdgcn-amd-amdhsa--gfx906
amdhsa.version:
  - 1
  - 2
...

	.end_amdgpu_metadata
